;; amdgpu-corpus repo=ROCm/rocFFT kind=compiled arch=gfx950 opt=O3
	.text
	.amdgcn_target "amdgcn-amd-amdhsa--gfx950"
	.amdhsa_code_object_version 6
	.protected	fft_rtc_fwd_len1287_factors_3_13_3_11_wgs_117_tpt_117_sp_op_CI_CI_sbrr_dirReg ; -- Begin function fft_rtc_fwd_len1287_factors_3_13_3_11_wgs_117_tpt_117_sp_op_CI_CI_sbrr_dirReg
	.globl	fft_rtc_fwd_len1287_factors_3_13_3_11_wgs_117_tpt_117_sp_op_CI_CI_sbrr_dirReg
	.p2align	8
	.type	fft_rtc_fwd_len1287_factors_3_13_3_11_wgs_117_tpt_117_sp_op_CI_CI_sbrr_dirReg,@function
fft_rtc_fwd_len1287_factors_3_13_3_11_wgs_117_tpt_117_sp_op_CI_CI_sbrr_dirReg: ; @fft_rtc_fwd_len1287_factors_3_13_3_11_wgs_117_tpt_117_sp_op_CI_CI_sbrr_dirReg
; %bb.0:
	s_load_dwordx4 s[12:15], s[0:1], 0x18
	s_load_dwordx4 s[8:11], s[0:1], 0x0
	;; [unrolled: 1-line block ×3, first 2 shown]
	v_mul_u32_u24_e32 v1, 0x231, v0
	v_add_u32_sdwa v6, s2, v1 dst_sel:DWORD dst_unused:UNUSED_PAD src0_sel:DWORD src1_sel:WORD_1
	s_waitcnt lgkmcnt(0)
	s_load_dwordx2 s[18:19], s[12:13], 0x0
	s_load_dwordx2 s[16:17], s[14:15], 0x0
	v_mov_b32_e32 v4, 0
	v_cmp_lt_u64_e64 s[2:3], s[10:11], 2
	v_mov_b32_e32 v7, v4
	s_and_b64 vcc, exec, s[2:3]
	v_mov_b64_e32 v[2:3], 0
	s_cbranch_vccnz .LBB0_8
; %bb.1:
	s_load_dwordx2 s[2:3], s[0:1], 0x10
	s_add_u32 s20, s14, 8
	s_addc_u32 s21, s15, 0
	s_add_u32 s22, s12, 8
	s_addc_u32 s23, s13, 0
	s_waitcnt lgkmcnt(0)
	s_add_u32 s24, s2, 8
	v_mov_b64_e32 v[2:3], 0
	s_addc_u32 s25, s3, 0
	s_mov_b64 s[26:27], 1
	v_mov_b64_e32 v[24:25], v[2:3]
.LBB0_2:                                ; =>This Inner Loop Header: Depth=1
	s_load_dwordx2 s[28:29], s[24:25], 0x0
                                        ; implicit-def: $vgpr26_vgpr27
	s_waitcnt lgkmcnt(0)
	v_or_b32_e32 v5, s29, v7
	v_cmp_ne_u64_e32 vcc, 0, v[4:5]
	s_and_saveexec_b64 s[2:3], vcc
	s_xor_b64 s[30:31], exec, s[2:3]
	s_cbranch_execz .LBB0_4
; %bb.3:                                ;   in Loop: Header=BB0_2 Depth=1
	v_cvt_f32_u32_e32 v1, s28
	v_cvt_f32_u32_e32 v5, s29
	s_sub_u32 s2, 0, s28
	s_subb_u32 s3, 0, s29
	v_fmac_f32_e32 v1, 0x4f800000, v5
	v_rcp_f32_e32 v1, v1
	s_nop 0
	v_mul_f32_e32 v1, 0x5f7ffffc, v1
	v_mul_f32_e32 v5, 0x2f800000, v1
	v_trunc_f32_e32 v5, v5
	v_fmac_f32_e32 v1, 0xcf800000, v5
	v_cvt_u32_f32_e32 v5, v5
	v_cvt_u32_f32_e32 v1, v1
	v_mul_lo_u32 v8, s2, v5
	v_mul_hi_u32 v10, s2, v1
	v_mul_lo_u32 v9, s3, v1
	v_add_u32_e32 v10, v10, v8
	v_mul_lo_u32 v12, s2, v1
	v_add_u32_e32 v13, v10, v9
	v_mul_hi_u32 v8, v1, v12
	v_mul_hi_u32 v11, v1, v13
	v_mul_lo_u32 v10, v1, v13
	v_mov_b32_e32 v9, v4
	v_lshl_add_u64 v[8:9], v[8:9], 0, v[10:11]
	v_mul_hi_u32 v11, v5, v12
	v_mul_lo_u32 v12, v5, v12
	v_add_co_u32_e32 v8, vcc, v8, v12
	v_mul_hi_u32 v10, v5, v13
	s_nop 0
	v_addc_co_u32_e32 v8, vcc, v9, v11, vcc
	v_mov_b32_e32 v9, v4
	s_nop 0
	v_addc_co_u32_e32 v11, vcc, 0, v10, vcc
	v_mul_lo_u32 v10, v5, v13
	v_lshl_add_u64 v[8:9], v[8:9], 0, v[10:11]
	v_add_co_u32_e32 v1, vcc, v1, v8
	v_mul_lo_u32 v10, s2, v1
	s_nop 0
	v_addc_co_u32_e32 v5, vcc, v5, v9, vcc
	v_mul_lo_u32 v8, s2, v5
	v_mul_hi_u32 v9, s2, v1
	v_add_u32_e32 v8, v9, v8
	v_mul_lo_u32 v9, s3, v1
	v_add_u32_e32 v12, v8, v9
	v_mul_hi_u32 v14, v5, v10
	v_mul_lo_u32 v15, v5, v10
	v_mul_hi_u32 v9, v1, v12
	v_mul_lo_u32 v8, v1, v12
	v_mul_hi_u32 v10, v1, v10
	v_mov_b32_e32 v11, v4
	v_lshl_add_u64 v[8:9], v[10:11], 0, v[8:9]
	v_add_co_u32_e32 v8, vcc, v8, v15
	v_mul_hi_u32 v13, v5, v12
	s_nop 0
	v_addc_co_u32_e32 v8, vcc, v9, v14, vcc
	v_mul_lo_u32 v10, v5, v12
	s_nop 0
	v_addc_co_u32_e32 v11, vcc, 0, v13, vcc
	v_mov_b32_e32 v9, v4
	v_lshl_add_u64 v[8:9], v[8:9], 0, v[10:11]
	v_add_co_u32_e32 v1, vcc, v1, v8
	v_mul_hi_u32 v10, v6, v1
	s_nop 0
	v_addc_co_u32_e32 v5, vcc, v5, v9, vcc
	v_mad_u64_u32 v[8:9], s[2:3], v6, v5, 0
	v_mov_b32_e32 v11, v4
	v_lshl_add_u64 v[8:9], v[10:11], 0, v[8:9]
	v_mad_u64_u32 v[12:13], s[2:3], v7, v1, 0
	v_add_co_u32_e32 v1, vcc, v8, v12
	v_mad_u64_u32 v[10:11], s[2:3], v7, v5, 0
	s_nop 0
	v_addc_co_u32_e32 v8, vcc, v9, v13, vcc
	v_mov_b32_e32 v9, v4
	s_nop 0
	v_addc_co_u32_e32 v11, vcc, 0, v11, vcc
	v_lshl_add_u64 v[8:9], v[8:9], 0, v[10:11]
	v_mul_lo_u32 v1, s29, v8
	v_mul_lo_u32 v5, s28, v9
	v_mad_u64_u32 v[10:11], s[2:3], s28, v8, 0
	v_add3_u32 v1, v11, v5, v1
	v_sub_u32_e32 v5, v7, v1
	v_mov_b32_e32 v11, s29
	v_sub_co_u32_e32 v14, vcc, v6, v10
	v_lshl_add_u64 v[12:13], v[8:9], 0, 1
	s_nop 0
	v_subb_co_u32_e64 v5, s[2:3], v5, v11, vcc
	v_subrev_co_u32_e64 v10, s[2:3], s28, v14
	v_subb_co_u32_e32 v1, vcc, v7, v1, vcc
	s_nop 0
	v_subbrev_co_u32_e64 v5, s[2:3], 0, v5, s[2:3]
	v_cmp_le_u32_e64 s[2:3], s29, v5
	v_cmp_le_u32_e32 vcc, s29, v1
	s_nop 0
	v_cndmask_b32_e64 v11, 0, -1, s[2:3]
	v_cmp_le_u32_e64 s[2:3], s28, v10
	s_nop 1
	v_cndmask_b32_e64 v10, 0, -1, s[2:3]
	v_cmp_eq_u32_e64 s[2:3], s29, v5
	s_nop 1
	v_cndmask_b32_e64 v5, v11, v10, s[2:3]
	v_lshl_add_u64 v[10:11], v[8:9], 0, 2
	v_cmp_ne_u32_e64 s[2:3], 0, v5
	s_nop 1
	v_cndmask_b32_e64 v5, v13, v11, s[2:3]
	v_cndmask_b32_e64 v11, 0, -1, vcc
	v_cmp_le_u32_e32 vcc, s28, v14
	s_nop 1
	v_cndmask_b32_e64 v13, 0, -1, vcc
	v_cmp_eq_u32_e32 vcc, s29, v1
	s_nop 1
	v_cndmask_b32_e32 v1, v11, v13, vcc
	v_cmp_ne_u32_e32 vcc, 0, v1
	v_cndmask_b32_e64 v1, v12, v10, s[2:3]
	s_nop 0
	v_cndmask_b32_e32 v27, v9, v5, vcc
	v_cndmask_b32_e32 v26, v8, v1, vcc
.LBB0_4:                                ;   in Loop: Header=BB0_2 Depth=1
	s_andn2_saveexec_b64 s[2:3], s[30:31]
	s_cbranch_execz .LBB0_6
; %bb.5:                                ;   in Loop: Header=BB0_2 Depth=1
	v_cvt_f32_u32_e32 v1, s28
	s_sub_i32 s30, 0, s28
	v_mov_b32_e32 v27, v4
	v_rcp_iflag_f32_e32 v1, v1
	s_nop 0
	v_mul_f32_e32 v1, 0x4f7ffffe, v1
	v_cvt_u32_f32_e32 v1, v1
	v_mul_lo_u32 v5, s30, v1
	v_mul_hi_u32 v5, v1, v5
	v_add_u32_e32 v1, v1, v5
	v_mul_hi_u32 v1, v6, v1
	v_mul_lo_u32 v5, v1, s28
	v_sub_u32_e32 v5, v6, v5
	v_add_u32_e32 v8, 1, v1
	v_subrev_u32_e32 v9, s28, v5
	v_cmp_le_u32_e32 vcc, s28, v5
	s_nop 1
	v_cndmask_b32_e32 v5, v5, v9, vcc
	v_cndmask_b32_e32 v1, v1, v8, vcc
	v_add_u32_e32 v8, 1, v1
	v_cmp_le_u32_e32 vcc, s28, v5
	s_nop 1
	v_cndmask_b32_e32 v26, v1, v8, vcc
.LBB0_6:                                ;   in Loop: Header=BB0_2 Depth=1
	s_or_b64 exec, exec, s[2:3]
	v_mad_u64_u32 v[8:9], s[2:3], v26, s28, 0
	s_load_dwordx2 s[2:3], s[22:23], 0x0
	v_mul_lo_u32 v1, v27, s28
	v_mul_lo_u32 v5, v26, s29
	s_load_dwordx2 s[28:29], s[20:21], 0x0
	s_add_u32 s26, s26, 1
	v_add3_u32 v1, v9, v5, v1
	v_sub_co_u32_e32 v5, vcc, v6, v8
	s_addc_u32 s27, s27, 0
	s_nop 0
	v_subb_co_u32_e32 v1, vcc, v7, v1, vcc
	s_add_u32 s20, s20, 8
	s_waitcnt lgkmcnt(0)
	v_mul_lo_u32 v6, s2, v1
	v_mul_lo_u32 v7, s3, v5
	v_mad_u64_u32 v[2:3], s[2:3], s2, v5, v[2:3]
	s_addc_u32 s21, s21, 0
	v_add3_u32 v3, v7, v3, v6
	v_mul_lo_u32 v1, s28, v1
	v_mul_lo_u32 v6, s29, v5
	v_mad_u64_u32 v[24:25], s[2:3], s28, v5, v[24:25]
	s_add_u32 s22, s22, 8
	v_add3_u32 v25, v6, v25, v1
	s_addc_u32 s23, s23, 0
	v_mov_b64_e32 v[6:7], s[10:11]
	s_add_u32 s24, s24, 8
	v_cmp_ge_u64_e32 vcc, s[26:27], v[6:7]
	s_addc_u32 s25, s25, 0
	s_cbranch_vccnz .LBB0_9
; %bb.7:                                ;   in Loop: Header=BB0_2 Depth=1
	v_mov_b64_e32 v[6:7], v[26:27]
	s_branch .LBB0_2
.LBB0_8:
	v_mov_b64_e32 v[24:25], v[2:3]
	v_mov_b64_e32 v[26:27], v[6:7]
.LBB0_9:
	s_load_dwordx2 s[0:1], s[0:1], 0x28
	s_lshl_b64 s[20:21], s[10:11], 3
	s_add_u32 s10, s14, s20
	s_addc_u32 s11, s15, s21
                                        ; implicit-def: $sgpr14
                                        ; implicit-def: $vgpr132
                                        ; implicit-def: $vgpr134
                                        ; implicit-def: $vgpr135
	s_waitcnt lgkmcnt(0)
	v_cmp_gt_u64_e32 vcc, s[0:1], v[26:27]
	v_cmp_le_u64_e64 s[0:1], s[0:1], v[26:27]
	s_and_saveexec_b64 s[2:3], s[0:1]
	s_xor_b64 s[0:1], exec, s[2:3]
; %bb.10:
	s_mov_b32 s2, 0x2302303
	v_mul_hi_u32 v1, v0, s2
	v_mul_u32_u24_e32 v1, 0x75, v1
	v_sub_u32_e32 v132, v0, v1
	v_add_u32_e32 v134, 0x75, v132
	v_add_u32_e32 v135, 0xea, v132
	s_mov_b32 s14, 0
                                        ; implicit-def: $vgpr0
                                        ; implicit-def: $vgpr2_vgpr3
; %bb.11:
	s_or_saveexec_b64 s[2:3], s[0:1]
	s_load_dwordx2 s[10:11], s[10:11], 0x0
	v_mov_b32_e32 v133, s14
                                        ; implicit-def: $vgpr14
                                        ; implicit-def: $vgpr28
                                        ; implicit-def: $vgpr12
                                        ; implicit-def: $vgpr18
                                        ; implicit-def: $vgpr20
                                        ; implicit-def: $vgpr22
                                        ; implicit-def: $vgpr8
                                        ; implicit-def: $vgpr16
                                        ; implicit-def: $vgpr30
                                        ; implicit-def: $vgpr4
                                        ; implicit-def: $vgpr6
                                        ; implicit-def: $vgpr10
	s_xor_b64 exec, exec, s[2:3]
	s_cbranch_execz .LBB0_15
; %bb.12:
	s_add_u32 s0, s12, s20
	s_addc_u32 s1, s13, s21
	s_load_dwordx2 s[0:1], s[0:1], 0x0
	s_mov_b32 s12, 0x2302303
	s_waitcnt lgkmcnt(0)
	v_mul_lo_u32 v1, s1, v26
	v_mul_lo_u32 v6, s0, v27
	v_mad_u64_u32 v[4:5], s[0:1], s0, v26, 0
	v_add3_u32 v5, v5, v6, v1
	v_mul_hi_u32 v1, v0, s12
	v_mul_u32_u24_e32 v1, 0x75, v1
	v_sub_u32_e32 v132, v0, v1
	v_mad_u64_u32 v[6:7], s[0:1], s18, v132, 0
	v_mov_b32_e32 v0, v7
	v_mad_u64_u32 v[0:1], s[0:1], s19, v132, v[0:1]
	v_mov_b32_e32 v7, v0
	v_lshl_add_u64 v[0:1], v[4:5], 3, s[4:5]
	v_lshl_add_u64 v[0:1], v[2:3], 3, v[0:1]
	;; [unrolled: 1-line block ×3, first 2 shown]
	v_add_u32_e32 v7, 0x1ad, v132
	v_mad_u64_u32 v[4:5], s[0:1], s18, v7, 0
	v_mov_b32_e32 v6, v5
	v_mad_u64_u32 v[6:7], s[0:1], s19, v7, v[6:7]
	v_mov_b32_e32 v5, v6
	v_add_u32_e32 v7, 0x35a, v132
	v_lshl_add_u64 v[12:13], v[4:5], 3, v[0:1]
	v_mad_u64_u32 v[4:5], s[0:1], s18, v7, 0
	v_mov_b32_e32 v6, v5
	v_mad_u64_u32 v[6:7], s[0:1], s19, v7, v[6:7]
	v_mov_b32_e32 v5, v6
	v_add_u32_e32 v134, 0x75, v132
	v_lshl_add_u64 v[14:15], v[4:5], 3, v[0:1]
	;; [unrolled: 6-line block ×5, first 2 shown]
	global_load_dwordx2 v[4:5], v[2:3], off
	global_load_dwordx2 v[6:7], v[12:13], off
	;; [unrolled: 1-line block ×4, first 2 shown]
	v_mad_u64_u32 v[2:3], s[0:1], s18, v135, 0
	v_mov_b32_e32 v12, v3
	v_mad_u64_u32 v[12:13], s[0:1], s19, v135, v[12:13]
	v_add_u32_e32 v15, 0x297, v132
	v_mov_b32_e32 v3, v12
	v_mad_u64_u32 v[12:13], s[0:1], s18, v15, 0
	v_mov_b32_e32 v14, v13
	v_mad_u64_u32 v[14:15], s[0:1], s19, v15, v[14:15]
	v_add_u32_e32 v17, 0x444, v132
	v_mov_b32_e32 v13, v14
	v_mad_u64_u32 v[14:15], s[0:1], s18, v17, 0
	v_mov_b32_e32 v16, v15
	v_mad_u64_u32 v[16:17], s[0:1], s19, v17, v[16:17]
	v_mov_b32_e32 v15, v16
	v_lshl_add_u64 v[2:3], v[2:3], 3, v[0:1]
	v_lshl_add_u64 v[12:13], v[12:13], 3, v[0:1]
	;; [unrolled: 1-line block ×3, first 2 shown]
	global_load_dwordx2 v[16:17], v[28:29], off
	global_load_dwordx2 v[30:31], v[32:33], off
	;; [unrolled: 1-line block ×5, first 2 shown]
	s_movk_i32 s0, 0x4e
	v_cmp_gt_u32_e64 s[0:1], s0, v132
                                        ; implicit-def: $vgpr13
                                        ; implicit-def: $vgpr29
                                        ; implicit-def: $vgpr15
	s_and_saveexec_b64 s[4:5], s[0:1]
	s_cbranch_execz .LBB0_14
; %bb.13:
	v_add_u32_e32 v13, 0x15f, v132
	v_mad_u64_u32 v[2:3], s[0:1], s18, v13, 0
	v_mov_b32_e32 v12, v3
	v_mad_u64_u32 v[12:13], s[0:1], s19, v13, v[12:13]
	v_add_u32_e32 v15, 0x30c, v132
	v_mov_b32_e32 v3, v12
	v_mad_u64_u32 v[12:13], s[0:1], s18, v15, 0
	v_mov_b32_e32 v14, v13
	v_mad_u64_u32 v[14:15], s[0:1], s19, v15, v[14:15]
	v_mov_b32_e32 v13, v14
	v_add_u32_e32 v15, 0x4b9, v132
	v_lshl_add_u64 v[32:33], v[12:13], 3, v[0:1]
	v_mad_u64_u32 v[12:13], s[0:1], s18, v15, 0
	v_mov_b32_e32 v14, v13
	v_mad_u64_u32 v[14:15], s[0:1], s19, v15, v[14:15]
	v_lshl_add_u64 v[2:3], v[2:3], 3, v[0:1]
	v_mov_b32_e32 v13, v14
	v_lshl_add_u64 v[0:1], v[12:13], 3, v[0:1]
	global_load_dwordx2 v[12:13], v[2:3], off
	global_load_dwordx2 v[14:15], v[32:33], off
	;; [unrolled: 1-line block ×3, first 2 shown]
.LBB0_14:
	s_or_b64 exec, exec, s[4:5]
	v_mov_b32_e32 v133, v132
.LBB0_15:
	s_or_b64 exec, exec, s[2:3]
	s_waitcnt vmcnt(0)
	v_pk_add_f32 v[32:33], v[14:15], v[28:29] neg_lo:[0,1] neg_hi:[0,1]
	v_pk_add_f32 v[2:3], v[14:15], v[12:13]
	v_pk_add_f32 v[14:15], v[28:29], v[14:15]
	s_mov_b32 s0, 0x3f5db3d7
	v_pk_add_f32 v[2:3], v[28:29], v[2:3]
	v_pk_fma_f32 v[12:13], v[14:15], 0.5, v[12:13] op_sel_hi:[1,0,1] neg_lo:[1,0,0] neg_hi:[1,0,0]
	v_pk_mul_f32 v[28:29], v[32:33], s[0:1] op_sel_hi:[1,0]
	v_pk_add_f32 v[0:1], v[4:5], v[6:7]
	v_pk_add_f32 v[14:15], v[12:13], v[28:29] op_sel:[0,1] op_sel_hi:[1,0] neg_lo:[0,1] neg_hi:[0,1]
	v_pk_add_f32 v[28:29], v[28:29], v[12:13] op_sel:[1,0] op_sel_hi:[0,1]
	v_pk_add_f32 v[12:13], v[6:7], v[10:11]
	v_pk_add_f32 v[0:1], v[0:1], v[10:11]
	v_pk_fma_f32 v[12:13], v[12:13], 0.5, v[4:5] op_sel_hi:[1,0,1] neg_lo:[1,0,0] neg_hi:[1,0,0]
	v_pk_add_f32 v[4:5], v[6:7], v[10:11] neg_lo:[0,1] neg_hi:[0,1]
	v_mad_u32_u24 v33, v132, 24, 0
	v_pk_mul_f32 v[6:7], v[4:5], s[0:1] op_sel_hi:[1,0]
	v_pk_add_f32 v[10:11], v[16:17], v[30:31]
	v_pk_add_f32 v[4:5], v[12:13], v[6:7] op_sel:[0,1] op_sel_hi:[1,0]
	v_pk_add_f32 v[12:13], v[12:13], v[6:7] op_sel:[0,1] op_sel_hi:[1,0] neg_lo:[0,1] neg_hi:[0,1]
	v_mov_b32_e32 v6, v4
	v_mov_b32_e32 v7, v13
	ds_write2_b64 v33, v[0:1], v[6:7] offset1:1
	v_mov_b32_e32 v6, v12
	v_mov_b32_e32 v7, v5
	ds_write_b64 v33, v[6:7] offset:16
	v_pk_add_f32 v[6:7], v[8:9], v[16:17]
	v_pk_fma_f32 v[10:11], v[10:11], 0.5, v[8:9] op_sel_hi:[1,0,1] neg_lo:[1,0,0] neg_hi:[1,0,0]
	v_pk_add_f32 v[8:9], v[16:17], v[30:31] neg_lo:[0,1] neg_hi:[0,1]
	v_mad_i32_i24 v32, v134, 24, 0
	v_pk_mul_f32 v[16:17], v[8:9], s[0:1] op_sel_hi:[1,0]
	v_pk_add_f32 v[6:7], v[6:7], v[30:31]
	v_pk_add_f32 v[8:9], v[10:11], v[16:17] op_sel:[0,1] op_sel_hi:[1,0]
	v_pk_add_f32 v[10:11], v[10:11], v[16:17] op_sel:[0,1] op_sel_hi:[1,0] neg_lo:[0,1] neg_hi:[0,1]
	v_mov_b32_e32 v16, v8
	v_mov_b32_e32 v17, v11
	ds_write2_b64 v32, v[6:7], v[16:17] offset1:1
	v_mov_b32_e32 v16, v10
	v_mov_b32_e32 v17, v9
	ds_write_b64 v32, v[16:17] offset:16
	v_pk_add_f32 v[16:17], v[20:21], v[22:23]
	v_pk_add_f32 v[30:31], v[18:19], v[20:21]
	;; [unrolled: 1-line block ×3, first 2 shown]
	v_pk_add_f32 v[18:19], v[20:21], v[18:19] neg_lo:[0,1] neg_hi:[0,1]
	v_pk_fma_f32 v[22:23], v[30:31], 0.5, v[22:23] op_sel_hi:[1,0,1] neg_lo:[1,0,0] neg_hi:[1,0,0]
	v_pk_mul_f32 v[20:21], v[18:19], s[0:1] op_sel_hi:[1,0]
	v_mad_i32_i24 v32, v135, 24, 0
	v_pk_add_f32 v[18:19], v[22:23], v[20:21] op_sel:[0,1] op_sel_hi:[1,0]
	v_pk_add_f32 v[20:21], v[22:23], v[20:21] op_sel:[0,1] op_sel_hi:[1,0] neg_lo:[0,1] neg_hi:[0,1]
	v_mov_b32_e32 v22, v18
	v_mov_b32_e32 v23, v21
	s_movk_i32 s0, 0x4e
	ds_write2_b64 v32, v[16:17], v[22:23] offset1:1
	v_mov_b32_e32 v22, v20
	v_mov_b32_e32 v23, v19
	v_cmp_gt_u32_e64 s[0:1], s0, v132
	ds_write_b64 v32, v[22:23] offset:16
	s_and_saveexec_b64 s[2:3], s[0:1]
	s_cbranch_execz .LBB0_17
; %bb.16:
	v_add_u32_e32 v30, 0x20e8, v33
	v_mov_b32_e32 v22, v28
	v_mov_b32_e32 v23, v15
	ds_write2_b64 v30, v[2:3], v[22:23] offset1:1
	v_mov_b32_e32 v22, v14
	v_mov_b32_e32 v23, v29
	ds_write_b64 v33, v[22:23] offset:8440
.LBB0_17:
	s_or_b64 exec, exec, s[2:3]
	s_movk_i32 s2, 0x63
	s_movk_i32 s4, 0x62
	v_cmp_gt_u32_e64 s[2:3], s2, v132
	v_cmp_lt_u32_e64 s[4:5], s4, v132
	s_waitcnt lgkmcnt(0)
	s_barrier
	s_waitcnt lgkmcnt(0)
                                        ; implicit-def: $vgpr34
                                        ; implicit-def: $vgpr30
                                        ; implicit-def: $vgpr32
                                        ; implicit-def: $vgpr36
                                        ; implicit-def: $vgpr38
                                        ; implicit-def: $vgpr40
	s_and_saveexec_b64 s[12:13], s[4:5]
	s_xor_b64 s[4:5], exec, s[12:13]
; %bb.18:
	v_mov_b32_e32 v34, v13
	v_mov_b32_e32 v30, v11
	;; [unrolled: 1-line block ×6, first 2 shown]
                                        ; implicit-def: $vgpr33
; %bb.19:
	s_or_saveexec_b64 s[4:5], s[4:5]
                                        ; implicit-def: $vgpr42
                                        ; implicit-def: $vgpr22
	s_xor_b64 exec, exec, s[4:5]
	s_cbranch_execz .LBB0_21
; %bb.20:
	v_lshlrev_b32_e32 v0, 4, v132
	v_sub_u32_e32 v28, v33, v0
	v_add_u32_e32 v4, 0x400, v28
	v_add_u32_e32 v8, 0x800, v28
	;; [unrolled: 1-line block ×5, first 2 shown]
	ds_read2_b64 v[0:3], v28 offset1:99
	ds_read2_b64 v[4:7], v4 offset0:70 offset1:169
	ds_read2_b64 v[8:11], v8 offset0:140 offset1:239
	;; [unrolled: 1-line block ×5, first 2 shown]
	ds_read_b64 v[42:43], v28 offset:9504
	s_waitcnt lgkmcnt(6)
	v_mov_b32_e32 v34, v3
	s_waitcnt lgkmcnt(3)
	v_mov_b32_e32 v28, v12
	v_mov_b32_e32 v29, v15
	;; [unrolled: 1-line block ×3, first 2 shown]
	s_waitcnt lgkmcnt(1)
	v_mov_b32_e32 v40, v21
	v_mov_b32_e32 v38, v19
	;; [unrolled: 1-line block ×7, first 2 shown]
	v_mov_b64_e32 v[2:3], v[22:23]
	s_waitcnt lgkmcnt(0)
	v_mov_b32_e32 v22, v43
.LBB0_21:
	s_or_b64 exec, exec, s[4:5]
	s_movk_i32 s4, 0xab
	v_mul_lo_u16_sdwa v9, v132, s4 dst_sel:DWORD dst_unused:UNUSED_PAD src0_sel:BYTE_0 src1_sel:DWORD
	v_lshrrev_b16_e32 v136, 9, v9
	v_mul_lo_u16_e32 v9, 3, v136
	v_sub_u16_e32 v137, v132, v9
	v_mov_b32_e32 v9, 12
	v_mul_u32_u24_sdwa v9, v137, v9 dst_sel:DWORD dst_unused:UNUSED_PAD src0_sel:BYTE_0 src1_sel:DWORD
	v_lshlrev_b32_e32 v9, 3, v9
	global_load_dwordx4 v[44:47], v9, s[8:9] offset:48
	global_load_dwordx4 v[48:51], v9, s[8:9]
	global_load_dwordx4 v[58:61], v9, s[8:9] offset:64
	global_load_dwordx4 v[68:71], v9, s[8:9] offset:80
	;; [unrolled: 1-line block ×4, first 2 shown]
	s_mov_b32 s20, 0xbf52af12
	s_mov_b32 s22, 0x3f29c268
	;; [unrolled: 1-line block ×16, first 2 shown]
	s_barrier
	s_waitcnt vmcnt(5)
	v_pk_mul_f32 v[54:55], v[38:39], v[44:45] op_sel_hi:[0,1]
	s_waitcnt vmcnt(4)
	v_mul_f32_e32 v9, v5, v51
	v_mul_f32_e32 v39, v12, v51
	v_pk_mul_f32 v[34:35], v[34:35], v[48:49] op_sel_hi:[0,1]
	s_waitcnt vmcnt(3)
	v_pk_mul_f32 v[62:63], v[2:3], v[58:59] op_sel:[1,1] op_sel_hi:[1,0]
	v_pk_mul_f32 v[64:65], v[14:15], v[60:61] op_sel:[1,0]
	s_waitcnt vmcnt(2)
	v_pk_mul_f32 v[22:23], v[22:23], v[70:71] op_sel_hi:[0,1]
	v_pk_mul_f32 v[72:73], v[28:29], v[68:69] op_sel:[1,0]
	s_waitcnt vmcnt(0)
	v_mul_f32_e32 v31, v7, v83
	v_mul_f32_e32 v51, v6, v83
	v_mov_b32_e32 v86, v85
	v_mov_b32_e32 v87, v84
	v_fma_f32 v38, v12, v50, -v9
	v_fmac_f32_e32 v39, v5, v50
	v_pk_fma_f32 v[12:13], v[4:5], v[48:49], v[34:35] op_sel:[0,0,1] op_sel_hi:[0,1,0]
	v_pk_fma_f32 v[74:75], v[4:5], v[48:49], v[34:35] op_sel:[0,0,1] op_sel_hi:[0,1,0] neg_lo:[0,0,1] neg_hi:[0,0,1]
	v_pk_fma_f32 v[56:57], v[2:3], v[58:59], v[62:63] neg_lo:[0,0,1] neg_hi:[0,0,1]
	v_pk_fma_f32 v[2:3], v[2:3], v[58:59], v[62:63] op_sel_hi:[0,1,1]
	v_pk_fma_f32 v[62:63], v[28:29], v[60:61], v[64:65] op_sel:[0,0,1] op_sel_hi:[1,1,0] neg_lo:[0,0,1] neg_hi:[0,0,1]
	v_pk_fma_f32 v[4:5], v[28:29], v[60:61], v[64:65] op_sel:[0,0,1] op_sel_hi:[0,1,0]
	v_pk_fma_f32 v[28:29], v[42:43], v[70:71], v[22:23] op_sel:[0,0,1] op_sel_hi:[0,1,0]
	v_pk_fma_f32 v[70:71], v[42:43], v[70:71], v[22:23] op_sel:[0,0,1] op_sel_hi:[0,1,0] neg_lo:[0,0,1] neg_hi:[0,0,1]
	v_pk_fma_f32 v[66:67], v[14:15], v[68:69], v[72:73] op_sel:[0,0,1] op_sel_hi:[1,1,0] neg_lo:[0,0,1] neg_hi:[0,0,1]
	v_pk_fma_f32 v[14:15], v[14:15], v[68:69], v[72:73] op_sel:[0,0,1] op_sel_hi:[0,1,0]
	v_fma_f32 v50, v6, v82, -v31
	v_fmac_f32_e32 v51, v7, v82
	v_pk_mul_f32 v[6:7], v[30:31], v[86:87] op_sel_hi:[0,1]
	v_mov_b32_e32 v75, v13
	v_mov_b32_e32 v71, v29
	v_pk_mul_f32 v[32:33], v[32:33], v[78:79] op_sel_hi:[0,1]
	v_mov_b32_e32 v63, v5
	v_mov_b32_e32 v67, v15
	v_pk_fma_f32 v[82:83], v[8:9], v[84:85], v[6:7] neg_lo:[0,0,1] neg_hi:[0,0,1]
	v_pk_fma_f32 v[4:5], v[8:9], v[84:85], v[6:7] op_sel_hi:[0,1,1]
	v_pk_add_f32 v[92:93], v[74:75], v[70:71] neg_lo:[0,1] neg_hi:[0,1]
	v_pk_mul_f32 v[40:41], v[40:41], v[46:47] op_sel_hi:[0,1]
	v_pk_mul_f32 v[36:37], v[36:37], v[80:81] op_sel_hi:[0,1]
	v_pk_fma_f32 v[76:77], v[10:11], v[78:79], v[32:33] op_sel:[0,0,1] op_sel_hi:[1,1,0] neg_lo:[0,0,1] neg_hi:[0,0,1]
	v_pk_fma_f32 v[10:11], v[10:11], v[78:79], v[32:33] op_sel:[0,0,1] op_sel_hi:[0,1,0]
	v_mov_b32_e32 v83, v5
	v_pk_add_f32 v[98:99], v[38:39], v[66:67] neg_lo:[0,1] neg_hi:[0,1]
	v_pk_add_f32 v[4:5], v[74:75], v[70:71]
	v_pk_mul_f32 v[8:9], v[92:93], s[20:21] op_sel:[1,0] op_sel_hi:[0,0]
	v_pk_fma_f32 v[52:53], v[18:19], v[44:45], v[54:55] op_sel:[0,0,1] op_sel_hi:[1,1,0] neg_lo:[0,0,1] neg_hi:[0,0,1]
	v_pk_fma_f32 v[18:19], v[18:19], v[44:45], v[54:55] op_sel:[0,0,1] op_sel_hi:[0,1,0]
	v_pk_fma_f32 v[54:55], v[20:21], v[46:47], v[40:41] op_sel:[0,0,1] op_sel_hi:[1,1,0] neg_lo:[0,0,1] neg_hi:[0,0,1]
	v_pk_fma_f32 v[20:21], v[20:21], v[46:47], v[40:41] op_sel:[0,0,1] op_sel_hi:[0,1,0]
	;; [unrolled: 2-line block ×3, first 2 shown]
	v_mov_b32_e32 v77, v11
	v_mov_b32_e32 v57, v3
	v_pk_add_f32 v[2:3], v[38:39], v[66:67]
	v_pk_mul_f32 v[6:7], v[98:99], s[22:23] op_sel:[1,0] op_sel_hi:[0,0]
	v_pk_mul_f32 v[10:11], v[92:93], s[18:19] op_sel:[1,0] op_sel_hi:[0,0]
	;; [unrolled: 1-line block ×3, first 2 shown]
	v_pk_fma_f32 v[36:37], v[4:5], s[4:5], v[8:9] op_sel_hi:[1,0,1] neg_lo:[0,0,1] neg_hi:[0,0,1]
	v_pk_fma_f32 v[42:43], v[4:5], s[4:5], v[8:9] op_sel_hi:[1,0,1]
	v_mov_b32_e32 v55, v21
	v_pk_fma_f32 v[20:21], v[2:3], s[12:13], v[6:7] op_sel_hi:[1,0,1]
	v_pk_fma_f32 v[22:23], v[2:3], s[12:13], v[6:7] op_sel_hi:[1,0,1] neg_lo:[0,0,1] neg_hi:[0,0,1]
	v_pk_fma_f32 v[28:29], v[4:5], s[14:15], v[10:11] op_sel_hi:[1,0,1]
	v_pk_fma_f32 v[30:31], v[4:5], s[14:15], v[10:11] op_sel_hi:[1,0,1] neg_lo:[0,0,1] neg_hi:[0,0,1]
	v_pk_fma_f32 v[40:41], v[2:3], s[14:15], v[12:13] op_sel_hi:[1,0,1] neg_lo:[0,0,1] neg_hi:[0,0,1]
	v_pk_fma_f32 v[44:45], v[2:3], s[14:15], v[12:13] op_sel_hi:[1,0,1]
	v_mov_b32_e32 v6, v42
	v_mov_b32_e32 v7, v37
	;; [unrolled: 1-line block ×6, first 2 shown]
	v_pk_add_f32 v[6:7], v[0:1], v[6:7]
	v_mov_b32_e32 v10, v20
	v_mov_b32_e32 v11, v23
	v_pk_add_f32 v[8:9], v[8:9], v[6:7]
	v_pk_add_f32 v[6:7], v[0:1], v[12:13]
	v_pk_add_f32 v[124:125], v[50:51], v[62:63] neg_lo:[0,1] neg_hi:[0,1]
	v_pk_add_f32 v[10:11], v[10:11], v[6:7]
	v_pk_add_f32 v[6:7], v[50:51], v[62:63]
	v_pk_mul_f32 v[12:13], v[124:125], s[26:27] op_sel:[1,0] op_sel_hi:[0,0]
	v_pk_fma_f32 v[64:65], v[6:7], s[24:25], v[12:13] op_sel_hi:[1,0,1] neg_lo:[0,0,1] neg_hi:[0,0,1]
	v_pk_fma_f32 v[68:69], v[6:7], s[24:25], v[12:13] op_sel_hi:[1,0,1]
	v_mov_b32_e32 v13, v65
	v_mov_b32_e32 v12, v68
	v_pk_add_f32 v[12:13], v[12:13], v[8:9]
	v_pk_mul_f32 v[8:9], v[124:125], s[34:35] op_sel:[1,0] op_sel_hi:[0,0]
	v_pk_fma_f32 v[32:33], v[6:7], s[28:29], v[8:9] op_sel_hi:[1,0,1]
	v_pk_fma_f32 v[34:35], v[6:7], s[28:29], v[8:9] op_sel_hi:[1,0,1] neg_lo:[0,0,1] neg_hi:[0,0,1]
	v_mov_b32_e32 v8, v32
	v_mov_b32_e32 v9, v35
	v_pk_add_f32 v[126:127], v[82:83], v[56:57] neg_lo:[0,1] neg_hi:[0,1]
	v_pk_add_f32 v[10:11], v[8:9], v[10:11]
	v_pk_add_f32 v[8:9], v[82:83], v[56:57]
	v_pk_mul_f32 v[14:15], v[126:127], s[22:23] op_sel:[1,0] op_sel_hi:[0,0]
	v_pk_fma_f32 v[78:79], v[8:9], s[12:13], v[14:15] op_sel_hi:[1,0,1] neg_lo:[0,0,1] neg_hi:[0,0,1]
	v_pk_fma_f32 v[80:81], v[8:9], s[12:13], v[14:15] op_sel_hi:[1,0,1]
	v_mov_b32_e32 v15, v79
	v_mov_b32_e32 v14, v80
	v_pk_add_f32 v[12:13], v[14:15], v[12:13]
	s_mov_b32 s22, 0x3df6dbef
	v_pk_mul_f32 v[14:15], v[126:127], s[44:45] op_sel:[1,0] op_sel_hi:[0,0]
	v_pk_fma_f32 v[46:47], v[8:9], s[22:23], v[14:15] op_sel_hi:[1,0,1]
	v_pk_fma_f32 v[48:49], v[8:9], s[22:23], v[14:15] op_sel_hi:[1,0,1] neg_lo:[0,0,1] neg_hi:[0,0,1]
	v_mov_b32_e32 v14, v46
	v_mov_b32_e32 v15, v49
	v_pk_add_f32 v[128:129], v[76:77], v[54:55] neg_lo:[0,1] neg_hi:[0,1]
	v_mov_b32_e32 v73, v17
	v_pk_add_f32 v[14:15], v[14:15], v[10:11]
	v_pk_add_f32 v[10:11], v[76:77], v[54:55]
	v_pk_mul_f32 v[16:17], v[128:129], s[30:31] op_sel:[1,0] op_sel_hi:[0,0]
	v_pk_fma_f32 v[84:85], v[10:11], s[22:23], v[16:17] op_sel_hi:[1,0,1] neg_lo:[0,0,1] neg_hi:[0,0,1]
	v_pk_fma_f32 v[86:87], v[10:11], s[22:23], v[16:17] op_sel_hi:[1,0,1]
	v_mov_b32_e32 v17, v85
	v_mov_b32_e32 v16, v86
	v_pk_add_f32 v[12:13], v[16:17], v[12:13]
	v_pk_mul_f32 v[16:17], v[128:129], s[38:39] op_sel:[1,0] op_sel_hi:[0,0]
	v_mov_b32_e32 v53, v19
	v_pk_fma_f32 v[58:59], v[10:11], s[24:25], v[16:17] op_sel_hi:[1,0,1]
	v_pk_fma_f32 v[60:61], v[10:11], s[24:25], v[16:17] op_sel_hi:[1,0,1] neg_lo:[0,0,1] neg_hi:[0,0,1]
	v_mov_b32_e32 v16, v58
	v_mov_b32_e32 v17, v61
	v_pk_add_f32 v[130:131], v[72:73], v[52:53] neg_lo:[0,1] neg_hi:[0,1]
	v_pk_add_f32 v[14:15], v[16:17], v[14:15]
	v_pk_add_f32 v[18:19], v[72:73], v[52:53]
	v_pk_mul_f32 v[16:17], v[130:131], s[34:35] op_sel:[1,0] op_sel_hi:[0,0]
	v_pk_fma_f32 v[88:89], v[18:19], s[28:29], v[16:17] op_sel_hi:[1,0,1] neg_lo:[0,0,1] neg_hi:[0,0,1]
	v_pk_fma_f32 v[96:97], v[18:19], s[28:29], v[16:17] op_sel_hi:[1,0,1]
	v_mov_b32_e32 v17, v89
	v_mov_b32_e32 v16, v96
	v_pk_mul_f32 v[102:103], v[92:93], s[44:45] op_sel:[1,0] op_sel_hi:[0,0]
	v_pk_add_f32 v[12:13], v[16:17], v[12:13]
	v_pk_mul_f32 v[16:17], v[98:99], s[26:27] op_sel:[1,0] op_sel_hi:[0,0]
	v_pk_fma_f32 v[100:101], v[4:5], s[22:23], v[102:103] op_sel_hi:[1,0,1]
	v_pk_fma_f32 v[102:103], v[4:5], s[22:23], v[102:103] op_sel_hi:[1,0,1] neg_lo:[0,0,1] neg_hi:[0,0,1]
	v_pk_fma_f32 v[90:91], v[2:3], s[24:25], v[16:17] op_sel_hi:[1,0,1]
	v_pk_fma_f32 v[94:95], v[2:3], s[24:25], v[16:17] op_sel_hi:[1,0,1] neg_lo:[0,0,1] neg_hi:[0,0,1]
	v_mov_b32_e32 v104, v100
	v_mov_b32_e32 v105, v103
	;; [unrolled: 1-line block ×4, first 2 shown]
	v_pk_add_f32 v[104:105], v[0:1], v[104:105]
	v_pk_mul_f32 v[106:107], v[124:125], s[36:37] op_sel:[1,0] op_sel_hi:[0,0]
	v_pk_add_f32 v[16:17], v[16:17], v[104:105]
	v_pk_fma_f32 v[104:105], v[6:7], s[14:15], v[106:107] op_sel_hi:[1,0,1]
	v_pk_fma_f32 v[110:111], v[6:7], s[14:15], v[106:107] op_sel_hi:[1,0,1] neg_lo:[0,0,1] neg_hi:[0,0,1]
	v_mov_b32_e32 v106, v104
	v_mov_b32_e32 v107, v111
	v_pk_add_f32 v[16:17], v[106:107], v[16:17]
	v_pk_mul_f32 v[106:107], v[126:127], s[34:35] op_sel:[1,0] op_sel_hi:[0,0]
	v_pk_fma_f32 v[112:113], v[8:9], s[28:29], v[106:107] op_sel_hi:[1,0,1]
	v_pk_fma_f32 v[114:115], v[8:9], s[28:29], v[106:107] op_sel_hi:[1,0,1] neg_lo:[0,0,1] neg_hi:[0,0,1]
	v_mov_b32_e32 v106, v112
	v_mov_b32_e32 v107, v115
	v_pk_add_f32 v[16:17], v[106:107], v[16:17]
	v_pk_mul_f32 v[106:107], v[128:129], s[20:21] op_sel:[1,0] op_sel_hi:[0,0]
	;; [unrolled: 6-line block ×3, first 2 shown]
	v_pk_fma_f32 v[120:121], v[18:19], s[12:13], v[106:107] op_sel_hi:[1,0,1]
	v_pk_fma_f32 v[122:123], v[18:19], s[12:13], v[106:107] op_sel_hi:[1,0,1] neg_lo:[0,0,1] neg_hi:[0,0,1]
	v_mov_b32_e32 v106, v120
	v_mov_b32_e32 v107, v123
	v_pk_mul_f32 v[108:109], v[130:131], s[42:43] op_sel:[1,0] op_sel_hi:[0,0]
	v_pk_add_f32 v[16:17], v[106:107], v[16:17]
	v_pk_fma_f32 v[106:107], v[18:19], s[4:5], v[108:109] op_sel_hi:[1,0,1]
	v_pk_fma_f32 v[108:109], v[18:19], s[4:5], v[108:109] op_sel_hi:[1,0,1] neg_lo:[0,0,1] neg_hi:[0,0,1]
	v_mov_b32_e32 v138, v106
	v_mov_b32_e32 v139, v109
	v_pk_add_f32 v[14:15], v[138:139], v[14:15]
	s_and_saveexec_b64 s[36:37], s[2:3]
	s_cbranch_execz .LBB0_23
; %bb.22:
	v_pk_add_f32 v[74:75], v[0:1], v[74:75]
	v_mov_b32_e32 v138, v99
	v_pk_add_f32 v[38:39], v[74:75], v[38:39]
	v_mov_b32_e32 v139, v98
	;; [unrolled: 2-line block ×6, first 2 shown]
	v_mov_b32_e32 v126, v129
	v_mov_b32_e32 v127, v128
	;; [unrolled: 1-line block ×6, first 2 shown]
	v_pk_add_f32 v[38:39], v[38:39], v[52:53]
	s_mov_b32 s2, 0xbeedf032
	v_pk_add_f32 v[38:39], v[38:39], v[54:55]
	v_pk_mul_f32 v[50:51], v[130:131], s[2:3] op_sel_hi:[1,0]
	v_pk_add_f32 v[38:39], v[38:39], v[56:57]
	v_pk_fma_f32 v[52:53], v[4:5], s[28:29], v[50:51] op_sel_hi:[1,0,1] neg_lo:[0,0,1] neg_hi:[0,0,1]
	v_pk_fma_f32 v[50:51], v[4:5], s[28:29], v[50:51] op_sel_hi:[1,0,1]
	v_pk_mul_f32 v[56:57], v[138:139], s[20:21] op_sel_hi:[1,0]
	v_pk_add_f32 v[38:39], v[38:39], v[62:63]
	v_mov_b32_e32 v54, v52
	v_mov_b32_e32 v55, v51
	v_pk_fma_f32 v[62:63], v[2:3], s[4:5], v[56:57] op_sel_hi:[1,0,1] neg_lo:[0,0,1] neg_hi:[0,0,1]
	v_pk_fma_f32 v[56:57], v[2:3], s[4:5], v[56:57] op_sel_hi:[1,0,1]
	v_pk_add_f32 v[38:39], v[38:39], v[66:67]
	v_pk_add_f32 v[54:55], v[0:1], v[54:55]
	v_mov_b32_e32 v66, v62
	v_mov_b32_e32 v67, v57
	v_pk_add_f32 v[54:55], v[66:67], v[54:55]
	v_pk_mul_f32 v[66:67], v[98:99], s[44:45] op_sel_hi:[1,0]
	v_pk_add_f32 v[38:39], v[38:39], v[70:71]
	v_pk_fma_f32 v[70:71], v[6:7], s[22:23], v[66:67] op_sel_hi:[1,0,1] neg_lo:[0,0,1] neg_hi:[0,0,1]
	v_pk_fma_f32 v[66:67], v[6:7], s[22:23], v[66:67] op_sel_hi:[1,0,1]
	v_mov_b32_e32 v72, v70
	v_mov_b32_e32 v73, v67
	v_pk_add_f32 v[54:55], v[72:73], v[54:55]
	v_pk_mul_f32 v[72:73], v[124:125], s[18:19] op_sel_hi:[1,0]
	v_mov_b32_e32 v20, 3
	v_pk_fma_f32 v[74:75], v[8:9], s[14:15], v[72:73] op_sel_hi:[1,0,1] neg_lo:[0,0,1] neg_hi:[0,0,1]
	v_pk_fma_f32 v[72:73], v[8:9], s[14:15], v[72:73] op_sel_hi:[1,0,1]
	v_mov_b32_e32 v76, v74
	v_mov_b32_e32 v77, v73
	v_pk_add_f32 v[54:55], v[76:77], v[54:55]
	v_pk_mul_f32 v[76:77], v[126:127], s[40:41] op_sel_hi:[1,0]
	v_lshlrev_b32_sdwa v20, v20, v137 dst_sel:DWORD dst_unused:UNUSED_PAD src0_sel:DWORD src1_sel:BYTE_0
	v_pk_fma_f32 v[82:83], v[10:11], s[12:13], v[76:77] op_sel_hi:[1,0,1] neg_lo:[0,0,1] neg_hi:[0,0,1]
	v_pk_fma_f32 v[76:77], v[10:11], s[12:13], v[76:77] op_sel_hi:[1,0,1]
	v_mov_b32_e32 v92, v82
	v_mov_b32_e32 v93, v77
	v_pk_add_f32 v[54:55], v[92:93], v[54:55]
	v_pk_mul_f32 v[92:93], v[128:129], s[26:27] op_sel_hi:[1,0]
	v_mul_u32_u24_e32 v23, 0x138, v136
	v_pk_fma_f32 v[140:141], v[18:19], s[24:25], v[92:93] op_sel_hi:[1,0,1] neg_lo:[0,0,1] neg_hi:[0,0,1]
	v_pk_fma_f32 v[92:93], v[18:19], s[24:25], v[92:93] op_sel_hi:[1,0,1]
	v_mov_b32_e32 v142, v140
	v_mov_b32_e32 v143, v93
	v_pk_add_f32 v[54:55], v[142:143], v[54:55]
	v_add3_u32 v52, 0, v23, v20
	v_mov_b32_e32 v37, v43
	v_mov_b32_e32 v103, v101
	ds_write2_b64 v52, v[38:39], v[54:55] offset1:3
	v_mov_b32_e32 v41, v45
	v_pk_add_f32 v[36:37], v[0:1], v[36:37]
	v_pk_add_f32 v[38:39], v[0:1], v[102:103]
	v_mov_b32_e32 v95, v91
	v_pk_add_f32 v[36:37], v[40:41], v[36:37]
	v_mov_b32_e32 v65, v69
	;; [unrolled: 2-line block ×3, first 2 shown]
	v_mov_b32_e32 v31, v29
	v_pk_add_f32 v[36:37], v[64:65], v[36:37]
	v_mov_b32_e32 v79, v81
	v_pk_add_f32 v[38:39], v[110:111], v[38:39]
	;; [unrolled: 2-line block ×6, first 2 shown]
	v_pk_mul_f32 v[22:23], v[130:131], s[40:41] op_sel_hi:[1,0]
	v_pk_add_f32 v[36:37], v[84:85], v[36:37]
	v_mov_b32_e32 v89, v97
	v_pk_add_f32 v[38:39], v[118:119], v[38:39]
	v_mov_b32_e32 v123, v121
	v_mov_b32_e32 v35, v33
	v_pk_fma_f32 v[28:29], v[4:5], s[12:13], v[22:23] op_sel_hi:[1,0,1] neg_lo:[0,0,1] neg_hi:[0,0,1]
	v_pk_fma_f32 v[22:23], v[4:5], s[12:13], v[22:23] op_sel_hi:[1,0,1]
	v_pk_mul_f32 v[32:33], v[138:139], s[30:31] op_sel_hi:[1,0]
	v_pk_add_f32 v[36:37], v[88:89], v[36:37]
	v_pk_add_f32 v[38:39], v[122:123], v[38:39]
	;; [unrolled: 1-line block ×3, first 2 shown]
	v_mov_b32_e32 v30, v28
	v_mov_b32_e32 v31, v23
	v_pk_fma_f32 v[34:35], v[2:3], s[22:23], v[32:33] op_sel_hi:[1,0,1] neg_lo:[0,0,1] neg_hi:[0,0,1]
	v_pk_fma_f32 v[32:33], v[2:3], s[22:23], v[32:33] op_sel_hi:[1,0,1]
	ds_write2_b64 v52, v[36:37], v[38:39] offset0:6 offset1:9
	v_pk_add_f32 v[30:31], v[0:1], v[30:31]
	v_mov_b32_e32 v36, v34
	v_mov_b32_e32 v37, v33
	v_pk_add_f32 v[30:31], v[36:37], v[30:31]
	v_pk_mul_f32 v[36:37], v[98:99], s[20:21] op_sel_hi:[1,0]
	v_mov_b32_e32 v49, v47
	v_pk_fma_f32 v[38:39], v[6:7], s[4:5], v[36:37] op_sel_hi:[1,0,1] neg_lo:[0,0,1] neg_hi:[0,0,1]
	v_pk_fma_f32 v[36:37], v[6:7], s[4:5], v[36:37] op_sel_hi:[1,0,1]
	v_mov_b32_e32 v40, v38
	v_mov_b32_e32 v41, v37
	v_pk_add_f32 v[30:31], v[40:41], v[30:31]
	v_pk_mul_f32 v[40:41], v[124:125], s[38:39] op_sel_hi:[1,0]
	v_pk_add_f32 v[20:21], v[48:49], v[20:21]
	v_pk_fma_f32 v[42:43], v[8:9], s[24:25], v[40:41] op_sel_hi:[1,0,1] neg_lo:[0,0,1] neg_hi:[0,0,1]
	v_pk_fma_f32 v[40:41], v[8:9], s[24:25], v[40:41] op_sel_hi:[1,0,1]
	v_mov_b32_e32 v44, v42
	v_mov_b32_e32 v45, v41
	v_pk_add_f32 v[30:31], v[44:45], v[30:31]
	v_pk_mul_f32 v[44:45], v[126:127], s[34:35] op_sel_hi:[1,0]
	v_mov_b32_e32 v61, v59
	v_pk_fma_f32 v[46:47], v[10:11], s[28:29], v[44:45] op_sel_hi:[1,0,1] neg_lo:[0,0,1] neg_hi:[0,0,1]
	v_pk_fma_f32 v[44:45], v[10:11], s[28:29], v[44:45] op_sel_hi:[1,0,1]
	v_mov_b32_e32 v48, v46
	v_mov_b32_e32 v49, v45
	v_pk_add_f32 v[30:31], v[48:49], v[30:31]
	v_pk_mul_f32 v[48:49], v[128:129], s[18:19] op_sel_hi:[1,0]
	v_pk_add_f32 v[20:21], v[60:61], v[20:21]
	v_pk_fma_f32 v[54:55], v[18:19], s[14:15], v[48:49] op_sel_hi:[1,0,1] neg_lo:[0,0,1] neg_hi:[0,0,1]
	v_pk_fma_f32 v[48:49], v[18:19], s[14:15], v[48:49] op_sel_hi:[1,0,1]
	v_mov_b32_e32 v109, v107
	v_mov_b32_e32 v58, v54
	;; [unrolled: 1-line block ×3, first 2 shown]
	v_pk_add_f32 v[20:21], v[108:109], v[20:21]
	v_pk_add_f32 v[30:31], v[58:59], v[30:31]
	ds_write2_b64 v52, v[20:21], v[30:31] offset0:12 offset1:15
	v_pk_mul_f32 v[20:21], v[130:131], s[26:27] op_sel_hi:[1,0]
	v_pk_mul_f32 v[58:59], v[138:139], s[34:35] op_sel_hi:[1,0]
	v_pk_fma_f32 v[30:31], v[4:5], s[24:25], v[20:21] op_sel_hi:[1,0,1] neg_lo:[0,0,1] neg_hi:[0,0,1]
	v_pk_fma_f32 v[4:5], v[4:5], s[24:25], v[20:21] op_sel_hi:[1,0,1]
	v_mov_b32_e32 v20, v30
	v_mov_b32_e32 v21, v5
	v_pk_fma_f32 v[60:61], v[2:3], s[28:29], v[58:59] op_sel_hi:[1,0,1] neg_lo:[0,0,1] neg_hi:[0,0,1]
	v_pk_fma_f32 v[2:3], v[2:3], s[28:29], v[58:59] op_sel_hi:[1,0,1]
	v_pk_add_f32 v[20:21], v[0:1], v[20:21]
	v_mov_b32_e32 v58, v60
	v_mov_b32_e32 v59, v3
	v_pk_add_f32 v[20:21], v[58:59], v[20:21]
	v_pk_mul_f32 v[58:59], v[98:99], s[40:41] op_sel_hi:[1,0]
	v_mov_b32_e32 v5, v31
	v_pk_fma_f32 v[64:65], v[6:7], s[12:13], v[58:59] op_sel_hi:[1,0,1] neg_lo:[0,0,1] neg_hi:[0,0,1]
	v_pk_fma_f32 v[6:7], v[6:7], s[12:13], v[58:59] op_sel_hi:[1,0,1]
	v_mov_b32_e32 v58, v64
	v_mov_b32_e32 v59, v7
	v_pk_add_f32 v[20:21], v[58:59], v[20:21]
	v_pk_mul_f32 v[58:59], v[124:125], s[42:43] op_sel_hi:[1,0]
	v_pk_add_f32 v[4:5], v[0:1], v[4:5]
	v_pk_fma_f32 v[68:69], v[8:9], s[4:5], v[58:59] op_sel_hi:[1,0,1] neg_lo:[0,0,1] neg_hi:[0,0,1]
	v_pk_fma_f32 v[8:9], v[8:9], s[4:5], v[58:59] op_sel_hi:[1,0,1]
	v_mov_b32_e32 v58, v68
	v_mov_b32_e32 v59, v9
	v_pk_add_f32 v[20:21], v[58:59], v[20:21]
	v_pk_mul_f32 v[58:59], v[126:127], s[18:19] op_sel_hi:[1,0]
	v_mov_b32_e32 v3, v61
	v_pk_fma_f32 v[78:79], v[10:11], s[14:15], v[58:59] op_sel_hi:[1,0,1] neg_lo:[0,0,1] neg_hi:[0,0,1]
	v_pk_fma_f32 v[10:11], v[10:11], s[14:15], v[58:59] op_sel_hi:[1,0,1]
	v_mov_b32_e32 v58, v78
	v_mov_b32_e32 v59, v11
	v_pk_add_f32 v[2:3], v[2:3], v[4:5]
	v_mov_b32_e32 v7, v65
	v_pk_add_f32 v[20:21], v[58:59], v[20:21]
	v_pk_mul_f32 v[58:59], v[128:129], s[30:31] op_sel_hi:[1,0]
	v_pk_add_f32 v[2:3], v[6:7], v[2:3]
	v_mov_b32_e32 v9, v69
	v_pk_fma_f32 v[80:81], v[18:19], s[22:23], v[58:59] op_sel_hi:[1,0,1] neg_lo:[0,0,1] neg_hi:[0,0,1]
	v_pk_fma_f32 v[18:19], v[18:19], s[22:23], v[58:59] op_sel_hi:[1,0,1]
	v_pk_add_f32 v[2:3], v[8:9], v[2:3]
	v_mov_b32_e32 v11, v79
	v_mov_b32_e32 v58, v80
	;; [unrolled: 1-line block ×3, first 2 shown]
	v_pk_add_f32 v[2:3], v[10:11], v[2:3]
	v_mov_b32_e32 v19, v81
	v_pk_add_f32 v[20:21], v[58:59], v[20:21]
	v_pk_add_f32 v[2:3], v[18:19], v[2:3]
	v_mov_b32_e32 v23, v29
	v_mov_b32_e32 v51, v53
	ds_write2_b64 v52, v[20:21], v[2:3] offset0:18 offset1:21
	v_pk_add_f32 v[2:3], v[0:1], v[22:23]
	v_mov_b32_e32 v33, v35
	v_pk_add_f32 v[0:1], v[0:1], v[50:51]
	v_mov_b32_e32 v57, v63
	;; [unrolled: 2-line block ×10, first 2 shown]
	v_pk_add_f32 v[2:3], v[48:49], v[2:3]
	v_pk_add_f32 v[0:1], v[92:93], v[0:1]
	ds_write2_b64 v52, v[2:3], v[14:15] offset0:24 offset1:27
	ds_write2_b64 v52, v[16:17], v[12:13] offset0:30 offset1:33
	ds_write_b64 v52, v[0:1] offset:288
.LBB0_23:
	s_or_b64 exec, exec, s[36:37]
	v_lshl_add_u32 v28, v132, 3, 0
	v_add_u32_e32 v0, 0xc00, v28
	v_add_u32_e32 v4, 0x1400, v28
	;; [unrolled: 1-line block ×3, first 2 shown]
	s_waitcnt lgkmcnt(0)
	s_barrier
	ds_read2_b64 v[0:3], v0 offset0:45 offset1:162
	ds_read2_b64 v[4:7], v4 offset0:23 offset1:218
	v_lshl_add_u32 v29, v134, 3, 0
	ds_read2_b64 v[8:11], v8 offset0:79 offset1:196
	v_lshl_add_u32 v30, v135, 3, 0
	ds_read_b64 v[22:23], v28
	ds_read_b64 v[20:21], v29
	;; [unrolled: 1-line block ×3, first 2 shown]
	s_and_saveexec_b64 s[2:3], s[0:1]
	s_cbranch_execz .LBB0_25
; %bb.24:
	ds_read_b64 v[14:15], v28 offset:2808
	ds_read_b64 v[16:17], v28 offset:6240
	;; [unrolled: 1-line block ×3, first 2 shown]
.LBB0_25:
	s_or_b64 exec, exec, s[2:3]
	s_movk_i32 s2, 0xa5
	v_mul_lo_u16_sdwa v31, v132, s2 dst_sel:DWORD dst_unused:UNUSED_PAD src0_sel:BYTE_0 src1_sel:DWORD
	v_sub_u16_sdwa v32, v132, v31 dst_sel:DWORD dst_unused:UNUSED_PAD src0_sel:DWORD src1_sel:BYTE_1
	v_lshrrev_b16_e32 v32, 1, v32
	v_and_b32_e32 v32, 0x7f, v32
	v_add_u16_sdwa v31, v32, v31 dst_sel:DWORD dst_unused:UNUSED_PAD src0_sel:DWORD src1_sel:BYTE_1
	v_lshrrev_b16_e32 v31, 5, v31
	v_and_b32_e32 v31, 7, v31
	v_mul_lo_u16_e32 v32, 39, v31
	v_mul_lo_u16_sdwa v36, v134, s2 dst_sel:DWORD dst_unused:UNUSED_PAD src0_sel:BYTE_0 src1_sel:DWORD
	v_sub_u16_e32 v44, v132, v32
	v_sub_u16_sdwa v32, v134, v36 dst_sel:DWORD dst_unused:UNUSED_PAD src0_sel:DWORD src1_sel:BYTE_1
	s_mov_b32 s3, 0xa41b
	v_lshrrev_b16_e32 v37, 1, v32
	v_mul_u32_u24_sdwa v32, v135, s3 dst_sel:DWORD dst_unused:UNUSED_PAD src0_sel:WORD_0 src1_sel:DWORD
	v_sub_u16_sdwa v33, v135, v32 dst_sel:DWORD dst_unused:UNUSED_PAD src0_sel:DWORD src1_sel:WORD_1
	v_lshrrev_b16_e32 v33, 1, v33
	v_add_u16_sdwa v32, v33, v32 dst_sel:DWORD dst_unused:UNUSED_PAD src0_sel:DWORD src1_sel:WORD_1
	v_and_b32_e32 v37, 0x7f, v37
	v_lshrrev_b16_e32 v45, 5, v32
	v_add_u16_sdwa v36, v37, v36 dst_sel:DWORD dst_unused:UNUSED_PAD src0_sel:DWORD src1_sel:BYTE_1
	v_mul_lo_u16_e32 v32, 39, v45
	v_lshrrev_b16_e32 v36, 5, v36
	v_sub_u16_e32 v46, v135, v32
	v_and_b32_e32 v47, 7, v36
	v_lshlrev_b32_e32 v32, 4, v46
	v_mul_lo_u16_e32 v36, 39, v47
	v_mov_b32_e32 v40, 4
	global_load_dwordx4 v[32:35], v32, s[8:9] offset:288
	v_sub_u16_e32 v48, v134, v36
	v_lshlrev_b32_sdwa v36, v40, v48 dst_sel:DWORD dst_unused:UNUSED_PAD src0_sel:DWORD src1_sel:BYTE_0
	global_load_dwordx4 v[36:39], v36, s[8:9] offset:288
	v_lshlrev_b32_sdwa v40, v40, v44 dst_sel:DWORD dst_unused:UNUSED_PAD src0_sel:DWORD src1_sel:BYTE_0
	global_load_dwordx4 v[40:43], v40, s[8:9] offset:288
	s_movk_i32 s4, 0x3a8
	v_mov_b32_e32 v49, 3
	v_mul_u32_u24_e32 v45, 0x3a8, v45
	v_lshlrev_b32_e32 v46, 3, v46
	v_mul_u32_u24_sdwa v31, v31, s4 dst_sel:DWORD dst_unused:UNUSED_PAD src0_sel:WORD_0 src1_sel:DWORD
	v_mul_u32_u24_sdwa v47, v47, s4 dst_sel:DWORD dst_unused:UNUSED_PAD src0_sel:WORD_0 src1_sel:DWORD
	v_add3_u32 v52, 0, v45, v46
	v_lshlrev_b32_sdwa v44, v49, v44 dst_sel:DWORD dst_unused:UNUSED_PAD src0_sel:DWORD src1_sel:BYTE_0
	v_lshlrev_b32_sdwa v45, v49, v48 dst_sel:DWORD dst_unused:UNUSED_PAD src0_sel:DWORD src1_sel:BYTE_0
	v_add3_u32 v31, 0, v31, v44
	v_add3_u32 v53, 0, v47, v45
	s_mov_b32 s2, 0x3f5db3d7
	s_waitcnt lgkmcnt(0)
	s_barrier
	s_waitcnt vmcnt(2)
	v_pk_mul_f32 v[44:45], v[32:33], v[4:5] op_sel:[0,1]
	v_pk_mul_f32 v[46:47], v[34:35], v[10:11] op_sel:[0,1]
	v_pk_fma_f32 v[48:49], v[32:33], v[4:5], v[44:45] op_sel:[0,0,1] op_sel_hi:[1,1,0] neg_lo:[0,0,1] neg_hi:[0,0,1]
	v_pk_fma_f32 v[4:5], v[32:33], v[4:5], v[44:45] op_sel:[0,0,1] op_sel_hi:[1,0,0]
	v_pk_fma_f32 v[32:33], v[34:35], v[10:11], v[46:47] op_sel:[0,0,1] op_sel_hi:[1,1,0] neg_lo:[0,0,1] neg_hi:[0,0,1]
	v_pk_fma_f32 v[10:11], v[34:35], v[10:11], v[46:47] op_sel:[0,0,1] op_sel_hi:[1,0,0]
	v_mov_b32_e32 v49, v5
	v_mov_b32_e32 v33, v11
	s_waitcnt vmcnt(1)
	v_pk_mul_f32 v[4:5], v[36:37], v[2:3] op_sel:[0,1]
	v_pk_mul_f32 v[10:11], v[38:39], v[8:9] op_sel:[0,1]
	s_waitcnt vmcnt(0)
	v_pk_mul_f32 v[34:35], v[40:41], v[0:1] op_sel:[0,1]
	v_pk_mul_f32 v[44:45], v[42:43], v[6:7] op_sel:[0,1]
	v_pk_fma_f32 v[50:51], v[36:37], v[2:3], v[4:5] op_sel:[0,0,1] op_sel_hi:[1,1,0] neg_lo:[0,0,1] neg_hi:[0,0,1]
	v_pk_fma_f32 v[2:3], v[36:37], v[2:3], v[4:5] op_sel:[0,0,1] op_sel_hi:[1,0,0]
	v_pk_fma_f32 v[4:5], v[38:39], v[8:9], v[10:11] op_sel:[0,0,1] op_sel_hi:[1,1,0] neg_lo:[0,0,1] neg_hi:[0,0,1]
	v_pk_fma_f32 v[8:9], v[38:39], v[8:9], v[10:11] op_sel:[0,0,1] op_sel_hi:[1,0,0]
	v_pk_fma_f32 v[10:11], v[40:41], v[0:1], v[34:35] op_sel:[0,0,1] op_sel_hi:[1,1,0] neg_lo:[0,0,1] neg_hi:[0,0,1]
	v_pk_fma_f32 v[0:1], v[40:41], v[0:1], v[34:35] op_sel:[0,0,1] op_sel_hi:[1,0,0]
	v_pk_fma_f32 v[34:35], v[42:43], v[6:7], v[44:45] op_sel:[0,0,1] op_sel_hi:[1,1,0] neg_lo:[0,0,1] neg_hi:[0,0,1]
	v_pk_fma_f32 v[6:7], v[42:43], v[6:7], v[44:45] op_sel:[0,0,1] op_sel_hi:[1,0,0]
	v_mov_b32_e32 v51, v3
	v_mov_b32_e32 v11, v1
	;; [unrolled: 1-line block ×4, first 2 shown]
	v_pk_add_f32 v[0:1], v[20:21], v[50:51]
	v_pk_add_f32 v[6:7], v[10:11], v[34:35]
	v_pk_add_f32 v[8:9], v[10:11], v[34:35] neg_lo:[0,1] neg_hi:[0,1]
	v_pk_add_f32 v[2:3], v[22:23], v[10:11]
	v_pk_add_f32 v[10:11], v[50:51], v[4:5]
	v_pk_add_f32 v[38:39], v[50:51], v[4:5] neg_lo:[0,1] neg_hi:[0,1]
	v_pk_add_f32 v[0:1], v[0:1], v[4:5]
	v_pk_fma_f32 v[4:5], v[6:7], 0.5, v[22:23] op_sel_hi:[1,0,1] neg_lo:[1,0,0] neg_hi:[1,0,0]
	v_pk_mul_f32 v[6:7], v[8:9], s[2:3] op_sel_hi:[1,0]
	v_pk_fma_f32 v[8:9], v[10:11], 0.5, v[20:21] op_sel_hi:[1,0,1] neg_lo:[1,0,0] neg_hi:[1,0,0]
	v_pk_mul_f32 v[10:11], v[38:39], s[2:3] op_sel_hi:[1,0]
	v_pk_add_f32 v[20:21], v[4:5], v[6:7] op_sel:[0,1] op_sel_hi:[1,0]
	v_pk_add_f32 v[4:5], v[4:5], v[6:7] op_sel:[0,1] op_sel_hi:[1,0] neg_lo:[0,1] neg_hi:[0,1]
	v_pk_add_f32 v[2:3], v[2:3], v[34:35]
	v_pk_add_f32 v[6:7], v[8:9], v[10:11] op_sel:[0,1] op_sel_hi:[1,0]
	v_pk_add_f32 v[8:9], v[8:9], v[10:11] op_sel:[0,1] op_sel_hi:[1,0] neg_lo:[0,1] neg_hi:[0,1]
	v_mov_b32_e32 v10, v20
	v_mov_b32_e32 v11, v5
	;; [unrolled: 1-line block ×5, first 2 shown]
	ds_write2_b64 v31, v[2:3], v[10:11] offset1:39
	ds_write_b64 v31, v[4:5] offset:624
	ds_write2_b64 v53, v[0:1], v[20:21] offset1:39
	v_pk_add_f32 v[0:1], v[48:49], v[32:33]
	v_pk_add_f32 v[2:3], v[48:49], v[32:33] neg_lo:[0,1] neg_hi:[0,1]
	v_pk_fma_f32 v[0:1], v[0:1], 0.5, v[18:19] op_sel_hi:[1,0,1] neg_lo:[1,0,0] neg_hi:[1,0,0]
	v_pk_mul_f32 v[2:3], v[2:3], s[2:3] op_sel_hi:[1,0]
	v_pk_add_f32 v[46:47], v[18:19], v[48:49]
	v_pk_add_f32 v[4:5], v[0:1], v[2:3] op_sel:[0,1] op_sel_hi:[1,0]
	v_pk_add_f32 v[0:1], v[0:1], v[2:3] op_sel:[0,1] op_sel_hi:[1,0] neg_lo:[0,1] neg_hi:[0,1]
	v_pk_add_f32 v[36:37], v[46:47], v[32:33]
	v_mov_b32_e32 v9, v7
	v_mov_b32_e32 v2, v4
	;; [unrolled: 1-line block ×4, first 2 shown]
	ds_write_b64 v53, v[8:9] offset:624
	ds_write2_b64 v52, v[36:37], v[2:3] offset1:39
	ds_write_b64 v52, v[0:1] offset:624
	s_and_saveexec_b64 s[4:5], s[0:1]
	s_cbranch_execz .LBB0_27
; %bb.26:
	v_add_u32_e32 v0, 0x15f, v132
	v_mul_u32_u24_sdwa v1, v0, s3 dst_sel:DWORD dst_unused:UNUSED_PAD src0_sel:WORD_0 src1_sel:DWORD
	v_sub_u16_sdwa v2, v0, v1 dst_sel:DWORD dst_unused:UNUSED_PAD src0_sel:DWORD src1_sel:WORD_1
	v_lshrrev_b16_e32 v2, 1, v2
	v_add_u16_sdwa v1, v2, v1 dst_sel:DWORD dst_unused:UNUSED_PAD src0_sel:DWORD src1_sel:WORD_1
	v_lshrrev_b16_e32 v5, 5, v1
	v_mul_lo_u16_e32 v1, 39, v5
	v_sub_u16_e32 v6, v0, v1
	v_lshlrev_b32_e32 v0, 4, v6
	global_load_dwordx4 v[0:3], v0, s[8:9] offset:288
	v_mul_lo_u16_e32 v5, 0x75, v5
	v_mov_b32_e32 v4, v17
	v_lshlrev_b32_e32 v5, 3, v5
	v_lshlrev_b32_e32 v6, 3, v6
	v_add3_u32 v10, 0, v6, v5
	s_waitcnt vmcnt(0)
	v_pk_mul_f32 v[4:5], v[4:5], v[0:1] op_sel_hi:[0,1]
	v_pk_mul_f32 v[6:7], v[12:13], v[2:3] op_sel:[1,0]
	v_pk_fma_f32 v[8:9], v[16:17], v[0:1], v[4:5] op_sel:[0,0,1] op_sel_hi:[1,1,0] neg_lo:[0,0,1] neg_hi:[0,0,1]
	v_pk_fma_f32 v[0:1], v[16:17], v[0:1], v[4:5] op_sel:[0,0,1] op_sel_hi:[0,1,0]
	v_pk_fma_f32 v[4:5], v[12:13], v[2:3], v[6:7] op_sel:[0,0,1] op_sel_hi:[1,1,0] neg_lo:[0,0,1] neg_hi:[0,0,1]
	v_pk_fma_f32 v[2:3], v[12:13], v[2:3], v[6:7] op_sel:[0,0,1] op_sel_hi:[0,1,0]
	v_mov_b32_e32 v9, v1
	v_mov_b32_e32 v5, v3
	v_pk_add_f32 v[0:1], v[14:15], v[8:9]
	v_pk_add_f32 v[2:3], v[8:9], v[4:5]
	v_pk_add_f32 v[6:7], v[8:9], v[4:5] neg_lo:[0,1] neg_hi:[0,1]
	v_pk_add_f32 v[0:1], v[0:1], v[4:5]
	v_pk_fma_f32 v[2:3], -0.5, v[2:3], v[14:15] op_sel_hi:[0,1,1]
	v_pk_mul_f32 v[4:5], v[6:7], s[2:3] op_sel_hi:[1,0]
	s_nop 0
	v_pk_add_f32 v[6:7], v[2:3], v[4:5] op_sel:[0,1] op_sel_hi:[1,0]
	v_pk_add_f32 v[2:3], v[2:3], v[4:5] op_sel:[0,1] op_sel_hi:[1,0] neg_lo:[0,1] neg_hi:[0,1]
	v_mov_b32_e32 v4, v6
	v_mov_b32_e32 v5, v3
	;; [unrolled: 1-line block ×3, first 2 shown]
	ds_write2_b64 v10, v[0:1], v[4:5] offset1:39
	ds_write_b64 v10, v[2:3] offset:624
.LBB0_27:
	s_or_b64 exec, exec, s[4:5]
	s_waitcnt lgkmcnt(0)
	s_barrier
	s_and_saveexec_b64 s[0:1], vcc
	s_cbranch_execz .LBB0_29
; %bb.28:
	v_mul_lo_u32 v0, s11, v26
	v_mul_lo_u32 v1, s10, v27
	v_mad_u64_u32 v[2:3], s[0:1], s10, v26, 0
	v_add3_u32 v3, v3, v1, v0
	v_mul_u32_u24_e32 v0, 10, v132
	v_lshlrev_b32_e32 v8, 3, v0
	v_add_u32_e32 v0, 0x2000, v28
	v_add_u32_e32 v4, 0x1800, v28
	ds_read2_b64 v[32:35], v0 offset0:29 offset1:146
	ds_read_b64 v[30:31], v30
	ds_read_b64 v[20:21], v29
	;; [unrolled: 1-line block ×3, first 2 shown]
	ds_read2_b64 v[36:39], v4 offset0:51 offset1:168
	v_add_u32_e32 v4, 0x800, v28
	ds_read2_b64 v[40:43], v4 offset0:95 offset1:212
	v_add_u32_e32 v4, 0x1000, v28
	v_lshl_add_u64 v[2:3], v[2:3], 3, s[6:7]
	ds_read2_b64 v[44:47], v4 offset0:73 offset1:190
	v_lshl_add_u64 v[12:13], v[24:25], 3, v[2:3]
	global_load_dwordx4 v[48:51], v8, s[8:9] offset:928
	global_load_dwordx4 v[22:25], v8, s[8:9] offset:912
	;; [unrolled: 1-line block ×5, first 2 shown]
	v_mad_u64_u32 v[4:5], s[0:1], s16, v133, 0
	v_mov_b32_e32 v6, v5
	v_mad_u64_u32 v[6:7], s[0:1], s17, v133, v[6:7]
	v_mov_b32_e32 v5, v6
	v_lshl_add_u64 v[18:19], v[4:5], 3, v[12:13]
	v_add_u32_e32 v5, 0x75, v133
	v_mad_u64_u32 v[2:3], s[0:1], s16, v5, 0
	v_mov_b32_e32 v4, v3
	v_mad_u64_u32 v[4:5], s[0:1], s17, v5, v[4:5]
	v_mov_b32_e32 v3, v4
	v_add_u32_e32 v5, 0xea, v133
	v_lshl_add_u64 v[60:61], v[2:3], 3, v[12:13]
	v_mad_u64_u32 v[2:3], s[0:1], s16, v5, 0
	v_mov_b32_e32 v4, v3
	v_mad_u64_u32 v[4:5], s[0:1], s17, v5, v[4:5]
	v_mov_b32_e32 v3, v4
	v_add_u32_e32 v5, 0x15f, v133
	v_lshl_add_u64 v[62:63], v[2:3], 3, v[12:13]
	;; [unrolled: 6-line block ×4, first 2 shown]
	v_mad_u64_u32 v[2:3], s[0:1], s16, v5, 0
	v_mov_b32_e32 v4, v3
	v_mad_u64_u32 v[4:5], s[0:1], s17, v5, v[4:5]
	v_add_u32_e32 v7, 0x2be, v133
	v_mov_b32_e32 v3, v4
	v_mad_u64_u32 v[4:5], s[0:1], s16, v7, 0
	v_mov_b32_e32 v6, v5
	v_mad_u64_u32 v[6:7], s[0:1], s17, v7, v[6:7]
	v_add_u32_e32 v9, 0x333, v133
	v_mov_b32_e32 v5, v6
	;; [unrolled: 5-line block ×5, first 2 shown]
	v_mad_u64_u32 v[64:65], s[0:1], s16, v67, 0
	v_mov_b32_e32 v66, v65
	v_mad_u64_u32 v[66:67], s[0:1], s17, v67, v[66:67]
	v_mov_b32_e32 v65, v66
	v_lshl_add_u64 v[2:3], v[2:3], 3, v[12:13]
	v_lshl_add_u64 v[4:5], v[4:5], 3, v[12:13]
	;; [unrolled: 1-line block ×6, first 2 shown]
	s_waitcnt vmcnt(3) lgkmcnt(4)
	v_pk_mul_f32 v[64:65], v[22:23], v[20:21] op_sel:[0,1]
	s_mov_b32 s16, 0xbf0a6770
	v_pk_fma_f32 v[66:67], v[22:23], v[20:21], v[64:65] op_sel:[0,0,1] op_sel_hi:[1,1,0] neg_lo:[0,0,1] neg_hi:[0,0,1]
	v_pk_fma_f32 v[20:21], v[22:23], v[20:21], v[64:65] op_sel:[0,0,1] op_sel_hi:[1,0,0]
	s_mov_b32 s6, 0x3f575c64
	v_mov_b32_e32 v67, v21
	s_waitcnt vmcnt(2)
	v_pk_mul_f32 v[20:21], v[28:29], v[34:35] op_sel:[0,1]
	s_mov_b32 s18, 0xbf68dda4
	v_pk_fma_f32 v[64:65], v[28:29], v[34:35], v[20:21] op_sel:[0,0,1] op_sel_hi:[1,1,0] neg_lo:[0,0,1] neg_hi:[0,0,1]
	v_pk_fma_f32 v[20:21], v[28:29], v[34:35], v[20:21] op_sel:[0,0,1] op_sel_hi:[1,0,0]
	v_pk_mul_f32 v[28:29], v[24:25], v[30:31] op_sel:[0,1]
	v_mov_b32_e32 v65, v21
	v_pk_fma_f32 v[34:35], v[24:25], v[30:31], v[28:29] op_sel:[0,0,1] op_sel_hi:[1,1,0] neg_lo:[0,0,1] neg_hi:[0,0,1]
	v_pk_fma_f32 v[24:25], v[24:25], v[30:31], v[28:29] op_sel:[0,0,1] op_sel_hi:[1,0,0]
	s_waitcnt lgkmcnt(1)
	v_pk_mul_f32 v[28:29], v[48:49], v[40:41] op_sel:[0,1]
	v_mov_b32_e32 v35, v25
	v_pk_mul_f32 v[24:25], v[26:27], v[32:33] op_sel:[0,1]
	v_pk_fma_f32 v[70:71], v[48:49], v[40:41], v[28:29] op_sel:[0,0,1] op_sel_hi:[1,1,0] neg_lo:[0,0,1] neg_hi:[0,0,1]
	v_pk_fma_f32 v[68:69], v[26:27], v[32:33], v[24:25] op_sel:[0,0,1] op_sel_hi:[1,1,0] neg_lo:[0,0,1] neg_hi:[0,0,1]
	v_pk_fma_f32 v[24:25], v[26:27], v[32:33], v[24:25] op_sel:[0,0,1] op_sel_hi:[1,0,0]
	v_pk_fma_f32 v[28:29], v[48:49], v[40:41], v[28:29] op_sel:[0,0,1] op_sel_hi:[1,0,0]
	v_pk_add_f32 v[20:21], v[64:65], v[66:67]
	v_pk_add_f32 v[22:23], v[66:67], v[64:65] neg_lo:[0,1] neg_hi:[0,1]
	v_mov_b32_e32 v69, v25
	v_mov_b32_e32 v71, v29
	s_waitcnt vmcnt(1)
	v_pk_mul_f32 v[28:29], v[54:55], v[38:39] op_sel:[0,1]
	v_pk_mul_f32 v[32:33], v[50:51], v[42:43] op_sel:[0,1]
	s_waitcnt vmcnt(0) lgkmcnt(0)
	v_pk_mul_f32 v[48:49], v[56:57], v[44:45] op_sel:[0,1]
	v_pk_add_f32 v[66:67], v[66:67], v[0:1]
	v_pk_add_f32 v[24:25], v[68:69], v[34:35]
	v_pk_add_f32 v[26:27], v[34:35], v[68:69] neg_lo:[0,1] neg_hi:[0,1]
	v_pk_fma_f32 v[40:41], v[54:55], v[38:39], v[28:29] op_sel:[0,0,1] op_sel_hi:[1,1,0] neg_lo:[0,0,1] neg_hi:[0,0,1]
	v_pk_fma_f32 v[28:29], v[54:55], v[38:39], v[28:29] op_sel:[0,0,1] op_sel_hi:[1,0,0]
	v_pk_fma_f32 v[38:39], v[50:51], v[42:43], v[32:33] op_sel:[0,0,1] op_sel_hi:[1,1,0] neg_lo:[0,0,1] neg_hi:[0,0,1]
	v_pk_fma_f32 v[32:33], v[50:51], v[42:43], v[32:33] op_sel:[0,0,1] op_sel_hi:[1,0,0]
	;; [unrolled: 2-line block ×3, first 2 shown]
	v_pk_add_f32 v[34:35], v[66:67], v[34:35]
	v_mov_b32_e32 v39, v33
	v_mov_b32_e32 v51, v45
	v_pk_mul_f32 v[44:45], v[58:59], v[46:47] op_sel:[0,1]
	v_pk_add_f32 v[34:35], v[34:35], v[70:71]
	v_pk_mul_f32 v[32:33], v[52:53], v[36:37] op_sel:[0,1]
	v_pk_fma_f32 v[48:49], v[58:59], v[46:47], v[44:45] op_sel:[0,0,1] op_sel_hi:[1,1,0] neg_lo:[0,0,1] neg_hi:[0,0,1]
	v_pk_fma_f32 v[44:45], v[58:59], v[46:47], v[44:45] op_sel:[0,0,1] op_sel_hi:[1,0,0]
	v_pk_add_f32 v[34:35], v[34:35], v[38:39]
	v_pk_fma_f32 v[42:43], v[52:53], v[36:37], v[32:33] op_sel:[0,0,1] op_sel_hi:[1,1,0] neg_lo:[0,0,1] neg_hi:[0,0,1]
	v_pk_fma_f32 v[32:33], v[52:53], v[36:37], v[32:33] op_sel:[0,0,1] op_sel_hi:[1,0,0]
	v_mov_b32_e32 v49, v45
	v_pk_mul_f32 v[52:53], v[22:23], s[16:17] op_sel:[1,0] op_sel_hi:[0,0]
	v_pk_add_f32 v[34:35], v[34:35], v[50:51]
	v_mov_b32_e32 v41, v29
	v_mov_b32_e32 v43, v33
	s_mov_b32 s2, 0x3ed4b147
	v_pk_mul_f32 v[54:55], v[26:27], s[18:19] op_sel:[1,0] op_sel_hi:[0,0]
	v_pk_fma_f32 v[74:75], v[20:21], s[6:7], v[52:53] op_sel_hi:[1,0,1]
	v_pk_fma_f32 v[52:53], v[20:21], s[6:7], v[52:53] op_sel_hi:[1,0,1] neg_lo:[0,0,1] neg_hi:[0,0,1]
	v_pk_add_f32 v[34:35], v[48:49], v[34:35]
	v_pk_add_f32 v[30:31], v[70:71], v[40:41] neg_lo:[0,1] neg_hi:[0,1]
	s_mov_b32 s4, 0xbf7d64f0
	v_mov_b32_e32 v76, v74
	v_mov_b32_e32 v77, v53
	v_pk_fma_f32 v[78:79], v[24:25], s[2:3], v[54:55] op_sel_hi:[1,0,1]
	v_pk_fma_f32 v[54:55], v[24:25], s[2:3], v[54:55] op_sel_hi:[1,0,1] neg_lo:[0,0,1] neg_hi:[0,0,1]
	v_pk_add_f32 v[34:35], v[42:43], v[34:35]
	v_pk_add_f32 v[28:29], v[40:41], v[70:71]
	s_mov_b32 s0, 0xbe11bafb
	v_pk_mul_f32 v[56:57], v[30:31], s[4:5] op_sel:[1,0] op_sel_hi:[0,0]
	v_pk_add_f32 v[76:77], v[76:77], v[0:1]
	v_mov_b32_e32 v80, v78
	v_mov_b32_e32 v81, v55
	v_pk_add_f32 v[34:35], v[40:41], v[34:35]
	v_pk_add_f32 v[36:37], v[38:39], v[42:43] neg_lo:[0,1] neg_hi:[0,1]
	s_mov_b32 s10, 0xbf4178ce
	v_pk_add_f32 v[76:77], v[76:77], v[80:81]
	v_pk_fma_f32 v[80:81], v[28:29], s[0:1], v[56:57] op_sel_hi:[1,0,1]
	v_pk_fma_f32 v[56:57], v[28:29], s[0:1], v[56:57] op_sel_hi:[1,0,1] neg_lo:[0,0,1] neg_hi:[0,0,1]
	v_pk_add_f32 v[34:35], v[68:69], v[34:35]
	v_pk_add_f32 v[32:33], v[42:43], v[38:39]
	s_mov_b32 s8, 0xbf27a4f4
	v_pk_mul_f32 v[58:59], v[36:37], s[10:11] op_sel:[1,0] op_sel_hi:[0,0]
	v_mov_b32_e32 v82, v80
	v_mov_b32_e32 v83, v57
	v_pk_add_f32 v[34:35], v[64:65], v[34:35]
	v_mov_b32_e32 v53, v75
	v_pk_add_f32 v[46:47], v[50:51], v[48:49] neg_lo:[0,1] neg_hi:[0,1]
	s_mov_b32 s14, 0xbe903f40
	v_pk_add_f32 v[76:77], v[76:77], v[82:83]
	v_pk_fma_f32 v[82:83], v[32:33], s[8:9], v[58:59] op_sel_hi:[1,0,1]
	v_pk_fma_f32 v[58:59], v[32:33], s[8:9], v[58:59] op_sel_hi:[1,0,1] neg_lo:[0,0,1] neg_hi:[0,0,1]
	global_store_dwordx2 v[18:19], v[34:35], off
	v_pk_add_f32 v[18:19], v[52:53], v[0:1]
	v_mov_b32_e32 v55, v79
	v_pk_add_f32 v[44:45], v[48:49], v[50:51]
	s_mov_b32 s12, 0xbf75a155
	v_pk_mul_f32 v[72:73], v[46:47], s[14:15] op_sel:[1,0] op_sel_hi:[0,0]
	v_mov_b32_e32 v84, v82
	v_mov_b32_e32 v85, v59
	v_pk_add_f32 v[18:19], v[18:19], v[54:55]
	v_mov_b32_e32 v57, v81
	v_pk_add_f32 v[76:77], v[76:77], v[84:85]
	v_pk_fma_f32 v[84:85], v[44:45], s[12:13], v[72:73] op_sel_hi:[1,0,1]
	v_pk_fma_f32 v[72:73], v[44:45], s[12:13], v[72:73] op_sel_hi:[1,0,1] neg_lo:[0,0,1] neg_hi:[0,0,1]
	v_pk_add_f32 v[18:19], v[18:19], v[56:57]
	v_mov_b32_e32 v59, v83
	v_mov_b32_e32 v87, v73
	v_pk_add_f32 v[18:19], v[18:19], v[58:59]
	v_mov_b32_e32 v73, v85
	v_pk_add_f32 v[18:19], v[18:19], v[72:73]
	global_store_dwordx2 v[60:61], v[18:19], off
	v_pk_mul_f32 v[18:19], v[22:23], s[18:19] op_sel:[1,0] op_sel_hi:[0,0]
	v_pk_mul_f32 v[34:35], v[26:27], s[10:11] op_sel:[1,0] op_sel_hi:[0,0]
	v_pk_fma_f32 v[48:49], v[20:21], s[2:3], v[18:19] op_sel_hi:[1,0,1]
	v_pk_fma_f32 v[18:19], v[20:21], s[2:3], v[18:19] op_sel_hi:[1,0,1] neg_lo:[0,0,1] neg_hi:[0,0,1]
	s_mov_b32 s20, 0x3e903f40
	v_mov_b32_e32 v50, v48
	v_mov_b32_e32 v51, v19
	v_pk_fma_f32 v[52:53], v[24:25], s[8:9], v[34:35] op_sel_hi:[1,0,1]
	v_pk_fma_f32 v[34:35], v[24:25], s[8:9], v[34:35] op_sel_hi:[1,0,1] neg_lo:[0,0,1] neg_hi:[0,0,1]
	v_pk_mul_f32 v[38:39], v[30:31], s[20:21] op_sel:[1,0] op_sel_hi:[0,0]
	v_pk_add_f32 v[50:51], v[50:51], v[0:1]
	v_mov_b32_e32 v54, v52
	v_mov_b32_e32 v55, v35
	s_mov_b32 s22, 0x3f7d64f0
	v_pk_add_f32 v[50:51], v[50:51], v[54:55]
	v_pk_fma_f32 v[54:55], v[28:29], s[12:13], v[38:39] op_sel_hi:[1,0,1]
	v_pk_fma_f32 v[38:39], v[28:29], s[12:13], v[38:39] op_sel_hi:[1,0,1] neg_lo:[0,0,1] neg_hi:[0,0,1]
	v_pk_mul_f32 v[40:41], v[36:37], s[22:23] op_sel:[1,0] op_sel_hi:[0,0]
	v_mov_b32_e32 v56, v54
	v_mov_b32_e32 v57, v39
	;; [unrolled: 1-line block ×3, first 2 shown]
	s_mov_b32 s18, 0x3f0a6770
	v_pk_add_f32 v[50:51], v[50:51], v[56:57]
	v_pk_fma_f32 v[56:57], v[32:33], s[0:1], v[40:41] op_sel_hi:[1,0,1]
	v_pk_fma_f32 v[40:41], v[32:33], s[0:1], v[40:41] op_sel_hi:[1,0,1] neg_lo:[0,0,1] neg_hi:[0,0,1]
	v_pk_add_f32 v[18:19], v[18:19], v[0:1]
	v_mov_b32_e32 v35, v53
	v_pk_mul_f32 v[42:43], v[46:47], s[18:19] op_sel:[1,0] op_sel_hi:[0,0]
	v_mov_b32_e32 v58, v56
	v_mov_b32_e32 v59, v41
	v_pk_add_f32 v[18:19], v[18:19], v[34:35]
	v_mov_b32_e32 v39, v55
	v_pk_add_f32 v[50:51], v[50:51], v[58:59]
	v_pk_fma_f32 v[58:59], v[44:45], s[6:7], v[42:43] op_sel_hi:[1,0,1]
	v_pk_fma_f32 v[42:43], v[44:45], s[6:7], v[42:43] op_sel_hi:[1,0,1] neg_lo:[0,0,1] neg_hi:[0,0,1]
	v_pk_add_f32 v[18:19], v[18:19], v[38:39]
	v_mov_b32_e32 v41, v57
	v_mov_b32_e32 v61, v43
	v_pk_add_f32 v[18:19], v[18:19], v[40:41]
	v_mov_b32_e32 v43, v59
	v_pk_add_f32 v[18:19], v[18:19], v[42:43]
	global_store_dwordx2 v[62:63], v[18:19], off
	v_pk_mul_f32 v[18:19], v[22:23], s[4:5] op_sel:[1,0] op_sel_hi:[0,0]
	v_pk_mul_f32 v[34:35], v[26:27], s[20:21] op_sel:[1,0] op_sel_hi:[0,0]
	v_pk_fma_f32 v[48:49], v[20:21], s[0:1], v[18:19] op_sel_hi:[1,0,1]
	v_pk_fma_f32 v[18:19], v[20:21], s[0:1], v[18:19] op_sel_hi:[1,0,1] neg_lo:[0,0,1] neg_hi:[0,0,1]
	s_mov_b32 s20, 0x3f68dda4
	v_mov_b32_e32 v52, v48
	v_mov_b32_e32 v53, v19
	v_pk_fma_f32 v[54:55], v[24:25], s[12:13], v[34:35] op_sel_hi:[1,0,1]
	v_pk_fma_f32 v[34:35], v[24:25], s[12:13], v[34:35] op_sel_hi:[1,0,1] neg_lo:[0,0,1] neg_hi:[0,0,1]
	v_pk_mul_f32 v[38:39], v[30:31], s[20:21] op_sel:[1,0] op_sel_hi:[0,0]
	v_pk_add_f32 v[52:53], v[52:53], v[0:1]
	v_mov_b32_e32 v56, v54
	v_mov_b32_e32 v57, v35
	v_pk_add_f32 v[52:53], v[52:53], v[56:57]
	v_pk_fma_f32 v[56:57], v[28:29], s[2:3], v[38:39] op_sel_hi:[1,0,1]
	v_pk_fma_f32 v[38:39], v[28:29], s[2:3], v[38:39] op_sel_hi:[1,0,1] neg_lo:[0,0,1] neg_hi:[0,0,1]
	v_mov_b32_e32 v60, v58
	v_pk_mul_f32 v[40:41], v[36:37], s[16:17] op_sel:[1,0] op_sel_hi:[0,0]
	v_mov_b32_e32 v58, v56
	v_mov_b32_e32 v59, v39
	;; [unrolled: 1-line block ×3, first 2 shown]
	v_pk_add_f32 v[52:53], v[52:53], v[58:59]
	v_pk_fma_f32 v[58:59], v[32:33], s[6:7], v[40:41] op_sel_hi:[1,0,1]
	v_pk_fma_f32 v[40:41], v[32:33], s[6:7], v[40:41] op_sel_hi:[1,0,1] neg_lo:[0,0,1] neg_hi:[0,0,1]
	v_pk_add_f32 v[18:19], v[18:19], v[0:1]
	v_mov_b32_e32 v35, v55
	v_pk_add_f32 v[50:51], v[50:51], v[60:61]
	v_pk_mul_f32 v[42:43], v[46:47], s[10:11] op_sel:[1,0] op_sel_hi:[0,0]
	v_mov_b32_e32 v60, v58
	v_mov_b32_e32 v61, v41
	v_pk_add_f32 v[18:19], v[18:19], v[34:35]
	v_mov_b32_e32 v39, v57
	v_pk_add_f32 v[52:53], v[52:53], v[60:61]
	v_pk_fma_f32 v[60:61], v[44:45], s[8:9], v[42:43] op_sel_hi:[1,0,1]
	v_pk_fma_f32 v[42:43], v[44:45], s[8:9], v[42:43] op_sel_hi:[1,0,1] neg_lo:[0,0,1] neg_hi:[0,0,1]
	v_pk_add_f32 v[18:19], v[18:19], v[38:39]
	v_mov_b32_e32 v41, v59
	v_mov_b32_e32 v63, v43
	v_pk_add_f32 v[18:19], v[18:19], v[40:41]
	v_mov_b32_e32 v43, v61
	v_pk_add_f32 v[18:19], v[18:19], v[42:43]
	global_store_dwordx2 v[16:17], v[18:19], off
	v_pk_mul_f32 v[16:17], v[22:23], s[10:11] op_sel:[1,0] op_sel_hi:[0,0]
	v_pk_mul_f32 v[18:19], v[26:27], s[22:23] op_sel:[1,0] op_sel_hi:[0,0]
	v_pk_fma_f32 v[42:43], v[20:21], s[8:9], v[16:17] op_sel_hi:[1,0,1]
	v_pk_fma_f32 v[16:17], v[20:21], s[8:9], v[16:17] op_sel_hi:[1,0,1] neg_lo:[0,0,1] neg_hi:[0,0,1]
	v_mov_b32_e32 v48, v42
	v_mov_b32_e32 v49, v17
	v_pk_fma_f32 v[54:55], v[24:25], s[0:1], v[18:19] op_sel_hi:[1,0,1]
	v_pk_fma_f32 v[18:19], v[24:25], s[0:1], v[18:19] op_sel_hi:[1,0,1] neg_lo:[0,0,1] neg_hi:[0,0,1]
	v_pk_mul_f32 v[34:35], v[30:31], s[16:17] op_sel:[1,0] op_sel_hi:[0,0]
	v_pk_add_f32 v[48:49], v[48:49], v[0:1]
	v_mov_b32_e32 v56, v54
	v_mov_b32_e32 v57, v19
	v_pk_add_f32 v[48:49], v[48:49], v[56:57]
	v_pk_fma_f32 v[56:57], v[28:29], s[6:7], v[34:35] op_sel_hi:[1,0,1]
	v_pk_fma_f32 v[34:35], v[28:29], s[6:7], v[34:35] op_sel_hi:[1,0,1] neg_lo:[0,0,1] neg_hi:[0,0,1]
	v_pk_mul_f32 v[38:39], v[36:37], s[14:15] op_sel:[1,0] op_sel_hi:[0,0]
	v_mov_b32_e32 v58, v56
	v_mov_b32_e32 v59, v35
	;; [unrolled: 1-line block ×3, first 2 shown]
	v_pk_add_f32 v[48:49], v[48:49], v[58:59]
	v_pk_fma_f32 v[58:59], v[32:33], s[12:13], v[38:39] op_sel_hi:[1,0,1]
	v_pk_fma_f32 v[38:39], v[32:33], s[12:13], v[38:39] op_sel_hi:[1,0,1] neg_lo:[0,0,1] neg_hi:[0,0,1]
	v_pk_add_f32 v[16:17], v[16:17], v[0:1]
	v_mov_b32_e32 v19, v55
	v_mov_b32_e32 v62, v60
	v_pk_mul_f32 v[40:41], v[46:47], s[20:21] op_sel:[1,0] op_sel_hi:[0,0]
	v_mov_b32_e32 v60, v58
	v_mov_b32_e32 v61, v39
	v_pk_add_f32 v[16:17], v[16:17], v[18:19]
	v_mov_b32_e32 v35, v57
	v_pk_add_f32 v[48:49], v[48:49], v[60:61]
	v_pk_fma_f32 v[60:61], v[44:45], s[2:3], v[40:41] op_sel_hi:[1,0,1]
	v_pk_fma_f32 v[40:41], v[44:45], s[2:3], v[40:41] op_sel_hi:[1,0,1] neg_lo:[0,0,1] neg_hi:[0,0,1]
	v_pk_add_f32 v[16:17], v[16:17], v[34:35]
	v_mov_b32_e32 v39, v59
	v_pk_add_f32 v[52:53], v[52:53], v[62:63]
	v_mov_b32_e32 v63, v41
	;; [unrolled: 2-line block ×3, first 2 shown]
	v_pk_add_f32 v[16:17], v[16:17], v[40:41]
	global_store_dwordx2 v[14:15], v[16:17], off
	v_pk_mul_f32 v[14:15], v[22:23], s[14:15] op_sel:[1,0] op_sel_hi:[0,0]
	v_pk_fma_f32 v[16:17], v[20:21], s[12:13], v[14:15] op_sel_hi:[1,0,1]
	v_pk_fma_f32 v[14:15], v[20:21], s[12:13], v[14:15] op_sel_hi:[1,0,1] neg_lo:[0,0,1] neg_hi:[0,0,1]
	v_pk_mul_f32 v[20:21], v[26:27], s[18:19] op_sel:[1,0] op_sel_hi:[0,0]
	v_mov_b32_e32 v18, v16
	v_mov_b32_e32 v19, v15
	v_pk_fma_f32 v[22:23], v[24:25], s[6:7], v[20:21] op_sel_hi:[1,0,1]
	v_pk_fma_f32 v[20:21], v[24:25], s[6:7], v[20:21] op_sel_hi:[1,0,1] neg_lo:[0,0,1] neg_hi:[0,0,1]
	v_pk_add_f32 v[18:19], v[18:19], v[0:1]
	v_mov_b32_e32 v24, v22
	v_mov_b32_e32 v25, v21
	v_pk_add_f32 v[18:19], v[18:19], v[24:25]
	v_pk_mul_f32 v[24:25], v[30:31], s[10:11] op_sel:[1,0] op_sel_hi:[0,0]
	v_pk_fma_f32 v[26:27], v[28:29], s[8:9], v[24:25] op_sel_hi:[1,0,1]
	v_pk_fma_f32 v[24:25], v[28:29], s[8:9], v[24:25] op_sel_hi:[1,0,1] neg_lo:[0,0,1] neg_hi:[0,0,1]
	v_mov_b32_e32 v28, v26
	v_mov_b32_e32 v29, v25
	v_pk_add_f32 v[18:19], v[18:19], v[28:29]
	v_pk_mul_f32 v[28:29], v[36:37], s[20:21] op_sel:[1,0] op_sel_hi:[0,0]
	v_pk_fma_f32 v[30:31], v[32:33], s[2:3], v[28:29] op_sel_hi:[1,0,1]
	v_pk_fma_f32 v[28:29], v[32:33], s[2:3], v[28:29] op_sel_hi:[1,0,1] neg_lo:[0,0,1] neg_hi:[0,0,1]
	v_mov_b32_e32 v15, v17
	v_mov_b32_e32 v32, v30
	;; [unrolled: 1-line block ×3, first 2 shown]
	v_pk_add_f32 v[0:1], v[14:15], v[0:1]
	v_mov_b32_e32 v21, v23
	v_pk_add_f32 v[18:19], v[18:19], v[32:33]
	v_pk_mul_f32 v[32:33], v[46:47], s[4:5] op_sel:[1,0] op_sel_hi:[0,0]
	v_pk_add_f32 v[0:1], v[0:1], v[20:21]
	v_mov_b32_e32 v25, v27
	v_pk_fma_f32 v[34:35], v[44:45], s[0:1], v[32:33] op_sel_hi:[1,0,1]
	v_pk_fma_f32 v[32:33], v[44:45], s[0:1], v[32:33] op_sel_hi:[1,0,1] neg_lo:[0,0,1] neg_hi:[0,0,1]
	v_pk_add_f32 v[0:1], v[0:1], v[24:25]
	v_mov_b32_e32 v29, v31
	v_mov_b32_e32 v37, v33
	v_pk_add_f32 v[0:1], v[0:1], v[28:29]
	v_mov_b32_e32 v33, v35
	v_mov_b32_e32 v86, v84
	;; [unrolled: 1-line block ×4, first 2 shown]
	v_pk_add_f32 v[0:1], v[0:1], v[32:33]
	v_pk_add_f32 v[76:77], v[76:77], v[86:87]
	;; [unrolled: 1-line block ×4, first 2 shown]
	global_store_dwordx2 v[2:3], v[0:1], off
	global_store_dwordx2 v[4:5], v[18:19], off
	;; [unrolled: 1-line block ×6, first 2 shown]
.LBB0_29:
	s_endpgm
	.section	.rodata,"a",@progbits
	.p2align	6, 0x0
	.amdhsa_kernel fft_rtc_fwd_len1287_factors_3_13_3_11_wgs_117_tpt_117_sp_op_CI_CI_sbrr_dirReg
		.amdhsa_group_segment_fixed_size 0
		.amdhsa_private_segment_fixed_size 0
		.amdhsa_kernarg_size 104
		.amdhsa_user_sgpr_count 2
		.amdhsa_user_sgpr_dispatch_ptr 0
		.amdhsa_user_sgpr_queue_ptr 0
		.amdhsa_user_sgpr_kernarg_segment_ptr 1
		.amdhsa_user_sgpr_dispatch_id 0
		.amdhsa_user_sgpr_kernarg_preload_length 0
		.amdhsa_user_sgpr_kernarg_preload_offset 0
		.amdhsa_user_sgpr_private_segment_size 0
		.amdhsa_uses_dynamic_stack 0
		.amdhsa_enable_private_segment 0
		.amdhsa_system_sgpr_workgroup_id_x 1
		.amdhsa_system_sgpr_workgroup_id_y 0
		.amdhsa_system_sgpr_workgroup_id_z 0
		.amdhsa_system_sgpr_workgroup_info 0
		.amdhsa_system_vgpr_workitem_id 0
		.amdhsa_next_free_vgpr 144
		.amdhsa_next_free_sgpr 46
		.amdhsa_accum_offset 144
		.amdhsa_reserve_vcc 1
		.amdhsa_float_round_mode_32 0
		.amdhsa_float_round_mode_16_64 0
		.amdhsa_float_denorm_mode_32 3
		.amdhsa_float_denorm_mode_16_64 3
		.amdhsa_dx10_clamp 1
		.amdhsa_ieee_mode 1
		.amdhsa_fp16_overflow 0
		.amdhsa_tg_split 0
		.amdhsa_exception_fp_ieee_invalid_op 0
		.amdhsa_exception_fp_denorm_src 0
		.amdhsa_exception_fp_ieee_div_zero 0
		.amdhsa_exception_fp_ieee_overflow 0
		.amdhsa_exception_fp_ieee_underflow 0
		.amdhsa_exception_fp_ieee_inexact 0
		.amdhsa_exception_int_div_zero 0
	.end_amdhsa_kernel
	.text
.Lfunc_end0:
	.size	fft_rtc_fwd_len1287_factors_3_13_3_11_wgs_117_tpt_117_sp_op_CI_CI_sbrr_dirReg, .Lfunc_end0-fft_rtc_fwd_len1287_factors_3_13_3_11_wgs_117_tpt_117_sp_op_CI_CI_sbrr_dirReg
                                        ; -- End function
	.section	.AMDGPU.csdata,"",@progbits
; Kernel info:
; codeLenInByte = 9224
; NumSgprs: 52
; NumVgprs: 144
; NumAgprs: 0
; TotalNumVgprs: 144
; ScratchSize: 0
; MemoryBound: 0
; FloatMode: 240
; IeeeMode: 1
; LDSByteSize: 0 bytes/workgroup (compile time only)
; SGPRBlocks: 6
; VGPRBlocks: 17
; NumSGPRsForWavesPerEU: 52
; NumVGPRsForWavesPerEU: 144
; AccumOffset: 144
; Occupancy: 3
; WaveLimiterHint : 1
; COMPUTE_PGM_RSRC2:SCRATCH_EN: 0
; COMPUTE_PGM_RSRC2:USER_SGPR: 2
; COMPUTE_PGM_RSRC2:TRAP_HANDLER: 0
; COMPUTE_PGM_RSRC2:TGID_X_EN: 1
; COMPUTE_PGM_RSRC2:TGID_Y_EN: 0
; COMPUTE_PGM_RSRC2:TGID_Z_EN: 0
; COMPUTE_PGM_RSRC2:TIDIG_COMP_CNT: 0
; COMPUTE_PGM_RSRC3_GFX90A:ACCUM_OFFSET: 35
; COMPUTE_PGM_RSRC3_GFX90A:TG_SPLIT: 0
	.text
	.p2alignl 6, 3212836864
	.fill 256, 4, 3212836864
	.type	__hip_cuid_9d0e962e35f097cc,@object ; @__hip_cuid_9d0e962e35f097cc
	.section	.bss,"aw",@nobits
	.globl	__hip_cuid_9d0e962e35f097cc
__hip_cuid_9d0e962e35f097cc:
	.byte	0                               ; 0x0
	.size	__hip_cuid_9d0e962e35f097cc, 1

	.ident	"AMD clang version 19.0.0git (https://github.com/RadeonOpenCompute/llvm-project roc-6.4.0 25133 c7fe45cf4b819c5991fe208aaa96edf142730f1d)"
	.section	".note.GNU-stack","",@progbits
	.addrsig
	.addrsig_sym __hip_cuid_9d0e962e35f097cc
	.amdgpu_metadata
---
amdhsa.kernels:
  - .agpr_count:     0
    .args:
      - .actual_access:  read_only
        .address_space:  global
        .offset:         0
        .size:           8
        .value_kind:     global_buffer
      - .offset:         8
        .size:           8
        .value_kind:     by_value
      - .actual_access:  read_only
        .address_space:  global
        .offset:         16
        .size:           8
        .value_kind:     global_buffer
      - .actual_access:  read_only
        .address_space:  global
        .offset:         24
        .size:           8
        .value_kind:     global_buffer
      - .actual_access:  read_only
        .address_space:  global
        .offset:         32
        .size:           8
        .value_kind:     global_buffer
      - .offset:         40
        .size:           8
        .value_kind:     by_value
      - .actual_access:  read_only
        .address_space:  global
        .offset:         48
        .size:           8
        .value_kind:     global_buffer
      - .actual_access:  read_only
        .address_space:  global
        .offset:         56
        .size:           8
        .value_kind:     global_buffer
      - .offset:         64
        .size:           4
        .value_kind:     by_value
      - .actual_access:  read_only
        .address_space:  global
        .offset:         72
        .size:           8
        .value_kind:     global_buffer
      - .actual_access:  read_only
        .address_space:  global
        .offset:         80
        .size:           8
        .value_kind:     global_buffer
      - .actual_access:  read_only
        .address_space:  global
        .offset:         88
        .size:           8
        .value_kind:     global_buffer
      - .actual_access:  write_only
        .address_space:  global
        .offset:         96
        .size:           8
        .value_kind:     global_buffer
    .group_segment_fixed_size: 0
    .kernarg_segment_align: 8
    .kernarg_segment_size: 104
    .language:       OpenCL C
    .language_version:
      - 2
      - 0
    .max_flat_workgroup_size: 117
    .name:           fft_rtc_fwd_len1287_factors_3_13_3_11_wgs_117_tpt_117_sp_op_CI_CI_sbrr_dirReg
    .private_segment_fixed_size: 0
    .sgpr_count:     52
    .sgpr_spill_count: 0
    .symbol:         fft_rtc_fwd_len1287_factors_3_13_3_11_wgs_117_tpt_117_sp_op_CI_CI_sbrr_dirReg.kd
    .uniform_work_group_size: 1
    .uses_dynamic_stack: false
    .vgpr_count:     144
    .vgpr_spill_count: 0
    .wavefront_size: 64
amdhsa.target:   amdgcn-amd-amdhsa--gfx950
amdhsa.version:
  - 1
  - 2
...

	.end_amdgpu_metadata
